;; amdgpu-corpus repo=ROCm/aiter kind=harvested arch=n/a opt=n/a

/root/src/amdgpu-assembly/repos/ROCm__aiter/hsa/gfx942/pa/pa_bf16_pertokenFp8_gqa8_1tg_4w_mtp_msk0.co:	file format elf64-amdgpu

Disassembly of section .text:

0000000000002200 <_ZN5aiter40pa_bf16_pertokenFp8_gqa8_1tg_4w_mtp_msk0E>:
	s_and_b32 s1, s1, 0xffff                                   // 000000002200: 8601FF01 0000FFFF
	s_load_dwordx2 s[8:9], s[0:1], 0x0                         // 000000002208: C0060200 00000000
	s_load_dwordx2 s[12:13], s[0:1], 0x10                      // 000000002210: C0060300 00000010
	s_load_dwordx2 s[16:17], s[0:1], 0x20                      // 000000002218: C0060400 00000020
	s_load_dwordx2 s[20:21], s[0:1], 0x30                      // 000000002220: C0060500 00000030
	s_load_dwordx2 s[24:25], s[0:1], 0x40                      // 000000002228: C0060600 00000040
	s_load_dwordx2 s[28:29], s[0:1], 0x50                      // 000000002230: C0060700 00000050
	s_load_dwordx2 s[32:33], s[0:1], 0x60                      // 000000002238: C0060800 00000060
	s_load_dwordx2 s[36:37], s[0:1], 0x70                      // 000000002240: C0060900 00000070
	s_load_dword s64, s[0:1], 0x80                             // 000000002248: C0021000 00000080
	s_load_dword s65, s[0:1], 0x90                             // 000000002250: C0021040 00000090
	s_load_dword s66, s[0:1], 0xa0                             // 000000002258: C0021080 000000A0
	s_load_dword s74, s[0:1], 0xb0                             // 000000002260: C0021280 000000B0
	s_load_dword s68, s[0:1], 0xc0                             // 000000002268: C0021100 000000C0
	s_load_dword s69, s[0:1], 0xd0                             // 000000002270: C0021140 000000D0
	s_load_dword s77, s[0:1], 0xe0                             // 000000002278: C0021340 000000E0
	s_load_dwordx2 s[80:81], s[0:1], 0xf0                      // 000000002280: C0061400 000000F0
	v_lshrrev_b32_e32 v1, 10, v0                               // 000000002288: 2002008A
	v_lshrrev_b32_e32 v2, 10, v1                               // 00000000228C: 2004028A
	v_and_b32_e32 v2, 0x3ff, v2                                // 000000002290: 260404FF 000003FF
	v_and_b32_e32 v1, 0x3ff, v1                                // 000000002298: 260202FF 000003FF
	v_and_b32_e32 v0, 0x3ff, v0                                // 0000000022A0: 260000FF 000003FF
	v_lshrrev_b32_e32 v3, 6, v0                                // 0000000022A8: 20060086
	v_and_b32_e32 v0, 63, v0                                   // 0000000022AC: 260000BF
	s_mov_b32 s2, s2                                           // 0000000022B0: BE820002
	s_mov_b32 s3, s3                                           // 0000000022B4: BE830003
	s_mov_b32 s4, s4                                           // 0000000022B8: BE840004
	v_readfirstlane_b32 s7, v3                                 // 0000000022BC: 7E0E0503
	s_waitcnt lgkmcnt(0)                                       // 0000000022C0: BF8CC07F
	s_mul_i32 s67, 0x100, s77                                  // 0000000022C4: 92434DFF 00000100
	s_mul_i32 s76, 0x100, s77                                  // 0000000022CC: 924C4DFF 00000100
	s_mul_i32 s75, s66, s76                                    // 0000000022D4: 924B4C42
	s_mul_i32 s60, s3, 4                                       // 0000000022D8: 923C8403
	s_and_b32 s29, s29, 0xffff                                 // 0000000022DC: 861DFF1D 0000FFFF
	s_add_u32 s28, s60, s28                                    // 0000000022E4: 801C1C3C
	s_addc_u32 s29, 0, s29                                     // 0000000022E8: 821D1D80
	s_load_dword s72, s[28:29], 0x0                            // 0000000022EC: C002120E 00000000
	s_mul_i32 s60, s3, 4                                       // 0000000022F4: 923C8403
	s_and_b32 s81, s81, 0xffff                                 // 0000000022F8: 8651FF51 0000FFFF
	s_add_u32 s80, s60, s80                                    // 000000002300: 8050503C
	s_addc_u32 s81, 0, s81                                     // 000000002304: 82515180
	s_load_dword s84, s[80:81], 0x0                            // 000000002308: C0021528 00000000
	s_load_dword s85, s[80:81], 0x4                            // 000000002310: C0021568 00000004
	s_mov_b32 s10, s76                                         // 000000002318: BE8A004C
	s_mov_b32 s14, s67                                         // 00000000231C: BE8E0043
	s_mul_i32 s60, 4, s65                                      // 000000002320: 923C4184
	s_mov_b32 s26, s60                                         // 000000002324: BE9A003C
	s_mov_b32 s34, 0x80000000                                  // 000000002328: BEA200FF 80000000
	s_mov_b32 s38, 0x80000000                                  // 000000002330: BEA600FF 80000000
	s_mov_b32 s18, 0x80000000                                  // 000000002338: BE9200FF 80000000
	s_mov_b32 s22, 0x80000000                                  // 000000002340: BE9600FF 80000000
	s_mov_b32 s11, 0x20000                                     // 000000002348: BE8B00FF 00020000
	s_mov_b32 s15, 0x20000                                     // 000000002350: BE8F00FF 00020000
	s_mov_b32 s19, 0x20000                                     // 000000002358: BE9300FF 00020000
	s_mov_b32 s23, 0x20000                                     // 000000002360: BE9700FF 00020000
	s_mov_b32 s27, 0x20000                                     // 000000002368: BE9B00FF 00020000
	s_mov_b32 s35, 0x20000                                     // 000000002370: BEA300FF 00020000
	s_mov_b32 s39, 0x20000                                     // 000000002378: BEA700FF 00020000
	s_and_b32 s9, s9, 0xffff                                   // 000000002380: 8609FF09 0000FFFF
	s_and_b32 s13, s13, 0xffff                                 // 000000002388: 860DFF0D 0000FFFF
	s_and_b32 s17, s17, 0xffff                                 // 000000002390: 8611FF11 0000FFFF
	s_and_b32 s21, s21, 0xffff                                 // 000000002398: 8615FF15 0000FFFF
	s_and_b32 s25, s25, 0xffff                                 // 0000000023A0: 8619FF19 0000FFFF
	s_and_b32 s33, s33, 0xffff                                 // 0000000023A8: 8621FF21 0000FFFF
	s_and_b32 s37, s37, 0xffff                                 // 0000000023B0: 8625FF25 0000FFFF
	s_or_b32 s9, s9, 0x40000                                   // 0000000023B8: 8709FF09 00040000
	s_or_b32 s13, s13, 0x40000                                 // 0000000023C0: 870DFF0D 00040000
	s_or_b32 s17, s17, 0x40000                                 // 0000000023C8: 8711FF11 00040000
	s_or_b32 s21, s21, 0x40000                                 // 0000000023D0: 8715FF15 00040000
	s_or_b32 s25, s25, 0x40000                                 // 0000000023D8: 8719FF19 00040000
	s_or_b32 s33, s33, 0x40000                                 // 0000000023E0: 8721FF21 00040000
	s_or_b32 s37, s37, 0x40000                                 // 0000000023E8: 8725FF25 00040000
	v_accvgpr_write_b32 a127, 0                                // 0000000023F0: D3D9407F 18000080
	v_mov_b32_e32 v255, 0                                      // 0000000023F8: 7FFE0280
	s_mov_b32 s88, 0                                           // 0000000023FC: BED80080
	s_waitcnt lgkmcnt(0)                                       // 000000002400: BF8CC07F
	s_sub_u32 s86, s85, s84                                    // 000000002404: 80D65455
	s_mov_b32 s60, 2                                           // 000000002408: BEBC0082
	s_cmp_eq_i32 s60, s86                                      // 00000000240C: BF00563C
	s_cbranch_scc1 label_0DD3                                  // 000000002410: BF850D4E
	s_mov_b32 s60, 3                                           // 000000002414: BEBC0083
	s_cmp_eq_i32 s60, s86                                      // 000000002418: BF00563C
	s_cbranch_scc1 label_1E50                                  // 00000000241C: BF851DC8
	s_mov_b32 s60, 4                                           // 000000002420: BEBC0084
	s_cmp_eq_i32 s60, s86                                      // 000000002424: BF00563C
	s_cbranch_scc1 label_1E52                                  // 000000002428: BF851DC7
	s_mul_i32 s60, s3, s65                                     // 00000000242C: 923C4103
	s_mul_i32 s60, s60, 4                                      // 000000002430: 923C843C
	s_add_u32 s24, s60, s24                                    // 000000002434: 8018183C
	s_addc_u32 s25, 0, s25                                     // 000000002438: 82191980
	s_mov_b32 s56, 64                                          // 00000000243C: BEB800C0
	s_add_u32 s73, s72, 15                                     // 000000002440: 80498F48
	s_lshr_b32 s73, s73, 4                                     // 000000002444: 8F498449
	s_mul_i32 s60, s73, 4                                      // 000000002448: 923C8449
	s_mov_b32 s26, s60                                         // 00000000244C: BE9A003C
	v_and_b32_e32 v42, 3, v0                                   // 000000002450: 26540083
	v_cmp_eq_u32_e64 s[60:61], 0, v42                          // 000000002454: D0CA003C 00025480
	v_and_b32_e32 v41, 12, v0                                  // 00000000245C: 2652008C
	v_add_u32_e32 v1, s7, v41                                  // 000000002460: 68025207
	v_cndmask_b32_e64 v1, 0, v1, s[60:61]                      // 000000002464: D1000001 00F20280
	v_and_b32_e32 v42, 3, v0                                   // 00000000246C: 26540083
	v_cmp_eq_u32_e64 s[60:61], 1, v42                          // 000000002470: D0CA003C 00025481
	v_lshrrev_b32_e32 v41, 4, v0                               // 000000002478: 20520084
	v_and_b32_e32 v42, 12, v0                                  // 00000000247C: 2654008C
	v_add_u32_e32 v41, v42, v41                                // 000000002480: 6852532A
	v_cndmask_b32_e64 v41, 0, v41, s[60:61]                    // 000000002484: D1000029 00F25280
	v_add_u32_e32 v1, v1, v41                                  // 00000000248C: 68025301
	v_lshlrev_b32_e32 v1, 2, v1                                // 000000002490: 24020282
	buffer_load_dword v19, v1, s[24:27], 0 offen               // 000000002494: E0501000 80061301
	v_add_u32_e32 v1, s56, v1                                  // 00000000249C: 68020238
	buffer_load_dword v20, v1, s[24:27], 0 offen               // 0000000024A0: E0501000 80061401
	s_cmp_le_u32 s73, 32                                       // 0000000024A8: BF0BA049
	s_cselect_b32 s56, 0, s56                                  // 0000000024AC: 85383880
	s_mul_i32 s60, s2, s67                                     // 0000000024B0: 923C4302
	s_mul_i32 s61, s84, s74                                    // 0000000024B4: 923D4A54
	s_add_u32 s60, s60, s61                                    // 0000000024B8: 803C3D3C
	s_add_u32 s12, s60, s12                                    // 0000000024BC: 800C0C3C
	s_addc_u32 s13, 0, s13                                     // 0000000024C0: 820D0D80
	s_mul_i32 s60, s7, 0x108                                   // 0000000024C4: 923CFF07 00000108
	s_add_u32 m0, 0, s60                                       // 0000000024CC: 807C3C80
	s_mul_i32 s60, s7, 0x100                                   // 0000000024D0: 923CFF07 00000100
	v_lshlrev_b32_e32 v41, 2, v0                               // 0000000024D8: 24520082
	v_add_u32_e64 v41, v41, s60                                // 0000000024DC: D1340029 00007929
	buffer_load_dword v41, s[12:15], 0 offen lds               // 0000000024E4: E0511000 80030029
	s_mul_i32 s60, 4, 0x108                                    // 0000000024EC: 923CFF84 00000108
	s_add_u32 m0, m0, s60                                      // 0000000024F4: 807C3C7C
	v_add_u32_e32 v41, 0x400, v41                              // 0000000024F8: 685252FF 00000400
	buffer_load_dword v41, s[12:15], 0 offen lds               // 000000002500: E0511000 80030029
	s_mul_i32 s60, 4, 0x108                                    // 000000002508: 923CFF84 00000108
	s_add_u32 m0, m0, s60                                      // 000000002510: 807C3C7C
	v_add_u32_e32 v41, 0x400, v41                              // 000000002514: 685252FF 00000400
	s_mul_i32 s60, s7, 0x108                                   // 00000000251C: 923CFF07 00000108
	v_lshlrev_b32_e32 v41, 2, v0                               // 000000002524: 24520082
	v_add_u32_e64 v41, v41, s60                                // 000000002528: D1340029 00007929
	v_mov_b32_e32 v42, 0                                       // 000000002530: 7E540280
	ds_write_b32 v41, v42 offset:2112                          // 000000002534: D81A0840 00002A29
	ds_write_b32 v41, v42 offset:3168                          // 00000000253C: D81A0C60 00002A29
	v_lshrrev_b32_e32 v41, 4, v0                               // 000000002544: 20520084
	v_lshlrev_b32_e32 v41, 2, v41                              // 000000002548: 24525282
	v_and_b32_e32 v42, 3, v0                                   // 00000000254C: 26540083
	v_add_u32_e32 v41, v42, v41                                // 000000002550: 6852532A
	v_lshlrev_b32_e32 v74, 2, v41                              // 000000002554: 24945282
	v_mov_b32_e32 v75, v74                                     // 000000002558: 7E96034A
	s_mul_i32 s60, s2, 64                                      // 00000000255C: 923CC002
	s_add_u32 s32, s60, s32                                    // 000000002560: 8020203C
	s_addc_u32 s33, 0, s33                                     // 000000002564: 82212180
	s_add_u32 s36, s60, s36                                    // 000000002568: 8024243C
	s_addc_u32 s37, 0, s37                                     // 00000000256C: 82252580
	s_mul_i32 s60, s2, s76                                     // 000000002570: 923C4C02
	s_mul_i32 s61, s84, s75                                    // 000000002574: 923D4B54
	s_add_u32 s60, s60, s61                                    // 000000002578: 803C3D3C
	s_add_u32 s8, s60, s8                                      // 00000000257C: 8008083C
	s_addc_u32 s9, 0, s9                                       // 000000002580: 82090980
	s_mul_i32 s60, s7, 0x100                                   // 000000002584: 923CFF07 00000100
	v_lshlrev_b32_e32 v8, 2, v0                                // 00000000258C: 24100082
	v_add_u32_e64 v8, v8, s60                                  // 000000002590: D1340008 00007908
	s_mov_b32 s70, 0                                           // 000000002598: BEC60080
	s_and_b32 s71, s72, 0xffffff00                             // 00000000259C: 8647FF48 FFFFFF00
	s_mov_b32 s42, 0xff00ff00                                  // 0000000025A4: BEAA00FF FF00FF00
	s_mov_b32 s43, 0xff00ff00                                  // 0000000025AC: BEAB00FF FF00FF00
	s_mov_b32 s44, 0xf0f0f0f0                                  // 0000000025B4: BEAC00FF F0F0F0F0
	s_mov_b32 s45, 0xf0f0f0f0                                  // 0000000025BC: BEAD00FF F0F0F0F0
	v_mul_i32_i24_e64 v78, 64, s66                             // 0000000025C4: D106004E 000084C0
	v_mov_b32_e32 v68, s68                                     // 0000000025CC: 7E880244
	v_mov_b32_e32 v9, -1                                       // 0000000025D0: 7E1202C1
	s_mov_b32 s52, 0x7060302                                   // 0000000025D4: BEB400FF 07060302
	s_mov_b32 s53, 0x400                                       // 0000000025DC: BEB500FF 00000400
	s_mov_b32 s54, 0x40100                                     // 0000000025E4: BEB600FF 00040100
	s_mov_b32 s55, 0x4020100                                   // 0000000025EC: BEB700FF 04020100
	v_mov_b32_dpp v9, v9 row_shl:8 row_mask:0xf bank_mask:0xf bound_ctrl:1// 0000000025F4: 7E1202FA FF090809
	s_mov_b32 s6, 0x3fb8aa3b                                   // 0000000025FC: BE8600FF 3FB8AA3B
	v_mov_b32_e32 v14, 0xff800000                              // 000000002604: 7E1C02FF FF800000
	v_mov_b32_e32 v69, 0xff800000                              // 00000000260C: 7E8A02FF FF800000
	v_mov_b32_e32 v63, 0                                       // 000000002614: 7E7E0280
	v_mov_b32_e32 v47, 0                                       // 000000002618: 7E5E0280
	v_mov_b32_e32 v58, 0                                       // 00000000261C: 7E740280
	v_mov_b32_e32 v22, 0xffff0000                              // 000000002620: 7E2C02FF FFFF0000
	v_mov_b32_e32 v23, 0x7fff0000                              // 000000002628: 7E2E02FF 7FFF0000
	v_mov_b32_e32 v24, 0x7fff                                  // 000000002630: 7E3002FF 00007FFF
	v_add_u32_e32 v1, s56, v1                                  // 000000002638: 68020238
	v_and_b32_e32 v10, 15, v0                                  // 00000000263C: 2614008F
	v_lshlrev_b32_e32 v10, 2, v10                              // 000000002640: 24141482
	v_lshlrev_b32_e32 v11, 2, v0                               // 000000002644: 24160082
	s_mul_i32 s60, 0x100, s7                                   // 000000002648: 923C07FF 00000100
	v_add_u32_e32 v11, s60, v11                                // 000000002650: 6816163C
	v_lshrrev_b32_e32 v41, 4, v0                               // 000000002654: 20520084
	v_lshlrev_b32_e32 v42, 6, v41                              // 000000002658: 24545286
	v_and_b32_e32 v41, 15, v0                                  // 00000000265C: 2652008F
	v_lshlrev_b32_e32 v41, 1, v41                              // 000000002660: 24525281
	v_add_u32_e32 v42, v41, v42                                // 000000002664: 68545529
	v_lshlrev_b32_e32 v12, 2, v42                              // 000000002668: 24185482
	v_lshrrev_b32_e32 v41, 5, v0                               // 00000000266C: 20520085
	v_lshlrev_b32_e32 v42, 5, v41                              // 000000002670: 24545285
	v_and_b32_e32 v41, 31, v0                                  // 000000002674: 2652009F
	v_lshrrev_b32_e32 v43, 4, v41                              // 000000002678: 20565284
	v_add_u32_e32 v42, v43, v42                                // 00000000267C: 6854552B
	v_and_b32_e32 v41, 15, v0                                  // 000000002680: 2652008F
	v_lshlrev_b32_e32 v41, 1, v41                              // 000000002684: 24525281
	v_add_u32_e32 v42, v41, v42                                // 000000002688: 68545529
	v_lshlrev_b32_e32 v41, 2, v42                              // 00000000268C: 24525482
	s_mul_i32 s60, 0x100, s7                                   // 000000002690: 923C07FF 00000100
	v_add_u32_e64 v13, v41, s60                                // 000000002698: D134000D 00007929
	v_lshlrev_b32_e32 v6, 4, v0                                // 0000000026A0: 240C0084
	s_mul_i32 s60, s2, s69                                     // 0000000026A4: 923C4502
	s_add_u32 s16, s60, s16                                    // 0000000026A8: 8010103C
	s_addc_u32 s17, 0, s17                                     // 0000000026AC: 82111180
	v_and_b32_e32 v41, 15, v0                                  // 0000000026B0: 2652008F
	v_lshlrev_b32_e32 v7, 4, v41                               // 0000000026B4: 240E5284
	s_mul_i32 s61, s2, s69                                     // 0000000026B8: 923D4502
	s_mul_i32 s60, s7, 0x100                                   // 0000000026BC: 923CFF07 00000100
	s_add_u32 s60, s60, s61                                    // 0000000026C4: 803C3D3C
	s_add_u32 s20, s60, s20                                    // 0000000026C8: 8014143C
	s_addc_u32 s21, 0, s21                                     // 0000000026CC: 82151580
	s_waitcnt vmcnt(2)                                         // 0000000026D0: BF8C0F72
	v_mul_u32_u24_dpp v41, v19, v68 row_newbcast:0 row_mask:0xf bank_mask:0xf// 0000000026D4: 105288FA FF015013
	v_mul_u32_u24_dpp v42, v19, v68 row_newbcast:4 row_mask:0xf bank_mask:0xf// 0000000026DC: 105488FA FF015413
	v_mul_u32_u24_dpp v43, v19, v68 row_newbcast:8 row_mask:0xf bank_mask:0xf// 0000000026E4: 105688FA FF015813
	v_mul_u32_u24_dpp v44, v19, v68 row_newbcast:12 row_mask:0xf bank_mask:0xf// 0000000026EC: 105888FA FF015C13
	v_add_u32_e32 v25, v41, v6                                 // 0000000026F4: 68320D29
	v_add_u32_e32 v26, v42, v6                                 // 0000000026F8: 68340D2A
	v_add_u32_e32 v27, v43, v6                                 // 0000000026FC: 68360D2B
	v_add_u32_e32 v28, v44, v6                                 // 000000002700: 68380D2C
	v_mul_u32_u24_dpp v41, v19, v68 row_newbcast:1 row_mask:0xf bank_mask:0xf// 000000002704: 105288FA FF015113
	v_mul_u32_u24_dpp v42, v19, v68 row_newbcast:5 row_mask:0xf bank_mask:0xf// 00000000270C: 105488FA FF015513
	v_mul_u32_u24_dpp v43, v19, v68 row_newbcast:9 row_mask:0xf bank_mask:0xf// 000000002714: 105688FA FF015913
	v_mul_u32_u24_dpp v44, v19, v68 row_newbcast:13 row_mask:0xf bank_mask:0xf// 00000000271C: 105888FA FF015D13
	v_add_u32_e32 v33, v41, v7                                 // 000000002724: 68420F29
	v_add_u32_e32 v34, v42, v7                                 // 000000002728: 68440F2A
	v_add_u32_e32 v35, v43, v7                                 // 00000000272C: 68460F2B
	v_add_u32_e32 v36, v44, v7                                 // 000000002730: 68480F2C
	v_mul_u32_u24_dpp v41, v19, v78 quad_perm:[0,0,0,0] row_mask:0xf bank_mask:0xf// 000000002734: 10529CFA FF000013
	v_add_u32_e32 v2, v41, v74                                 // 00000000273C: 68049529
	v_mul_u32_u24_dpp v41, v19, v78 quad_perm:[0,0,0,0] row_mask:0xf bank_mask:0xf// 000000002740: 10529CFA FF000013
	v_add_u32_e32 v70, v41, v75                                // 000000002748: 688C9729
	buffer_load_dword v52, v2, s[32:35], 0 offen               // 00000000274C: E0501000 80083402
	buffer_load_dwordx4 a[0:3], v25, s[16:19], 0 offen         // 000000002754: E05C1000 80840019
	buffer_load_dwordx4 a[4:7], v25, s[16:19], 0 offen offset:1024// 00000000275C: E05C1400 80840419
	buffer_load_dwordx4 a[8:11], v26, s[16:19], 0 offen        // 000000002764: E05C1000 8084081A
	buffer_load_dwordx4 a[12:15], v26, s[16:19], 0 offen offset:1024// 00000000276C: E05C1400 80840C1A
	buffer_load_dwordx4 a[16:19], v27, s[16:19], 0 offen       // 000000002774: E05C1000 8084101B
	buffer_load_dwordx4 a[20:23], v27, s[16:19], 0 offen offset:1024// 00000000277C: E05C1400 8084141B
	buffer_load_dwordx4 a[24:27], v28, s[16:19], 0 offen       // 000000002784: E05C1000 8084181C
	buffer_load_dwordx4 a[28:31], v28, s[16:19], 0 offen offset:1024// 00000000278C: E05C1400 80841C1C
	buffer_load_dword v72, v70, s[36:39], 0 offen              // 000000002794: E0501000 80094846
	buffer_load_dwordx4 a[64:67], v33, s[20:23], 0 offen       // 00000000279C: E05C1000 80854021
	buffer_load_dwordx4 a[68:71], v34, s[20:23], 0 offen       // 0000000027A4: E05C1000 80854422
	buffer_load_dwordx4 a[72:75], v35, s[20:23], 0 offen       // 0000000027AC: E05C1000 80854823
	buffer_load_dwordx4 a[76:79], v36, s[20:23], 0 offen       // 0000000027B4: E05C1000 80854C24
	buffer_load_dwordx4 a[80:83], v33, s[20:23], 0 offen offset:1024// 0000000027BC: E05C1400 80855021
	buffer_load_dwordx4 a[84:87], v34, s[20:23], 0 offen offset:1024// 0000000027C4: E05C1400 80855422
	buffer_load_dwordx4 a[88:91], v35, s[20:23], 0 offen offset:1024// 0000000027CC: E05C1400 80855823
	buffer_load_dwordx4 a[92:95], v36, s[20:23], 0 offen offset:1024// 0000000027D4: E05C1400 80855C24
	v_lshrrev_b32_e32 v41, 4, v0                               // 0000000027DC: 20520084
	v_lshlrev_b32_e32 v42, 1, v41                              // 0000000027E0: 24545281
	v_and_b32_e32 v41, 15, v0                                  // 0000000027E4: 2652008F
	v_mul_i32_i24_e32 v41, 0x42, v41                           // 0000000027E8: 0C5252FF 00000042
	v_add_u32_e32 v42, v41, v42                                // 0000000027F0: 68545529
	v_lshlrev_b32_e32 v4, 2, v42                               // 0000000027F4: 24085482
	s_mul_i32 s60, s7, 32                                      // 0000000027F8: 923CA007
	v_add_u32_e32 v4, s60, v4                                  // 0000000027FC: 6808083C
	s_waitcnt vmcnt(16) lgkmcnt(0)                             // 000000002800: BF8C4070
	s_barrier                                                  // 000000002804: BF8A0000
	ds_read_b64 v[96:97], v4                                   // 000000002808: D8EC0000 60000004
	ds_read_b64 v[100:101], v4 offset:128                      // 000000002810: D8EC0080 64000004
	s_waitcnt lgkmcnt(0)                                       // 000000002818: BF8CC07F
	v_and_b32_e32 v99, 0xffff0000, v97                         // 00000000281C: 26C6C2FF FFFF0000
	v_lshlrev_b32_e32 v98, 16, v97                             // 000000002824: 24C4C290
	v_and_b32_e32 v97, 0xffff0000, v96                         // 000000002828: 26C2C0FF FFFF0000
	v_lshlrev_b32_e32 v96, 16, v96                             // 000000002830: 24C0C090
	v_and_b32_e32 v103, 0xffff0000, v101                       // 000000002834: 26CECAFF FFFF0000
	v_lshlrev_b32_e32 v102, 16, v101                           // 00000000283C: 24CCCA90
	v_and_b32_e32 v101, 0xffff0000, v100                       // 000000002840: 26CAC8FF FFFF0000
	v_lshlrev_b32_e32 v100, 16, v100                           // 000000002848: 24C8C890
	v_mov_b32_e32 v62, 0x358637bd                              // 00000000284C: 7E7C02FF 358637BD
	v_max3_f32 v62, |v96|, |v97|, v62                          // 000000002854: D1D3033E 04FAC360
	v_max3_f32 v62, |v98|, |v99|, v62                          // 00000000285C: D1D3033E 04FAC762
	v_max3_f32 v62, |v100|, |v101|, v62                        // 000000002864: D1D3033E 04FACB64
	v_max3_f32 v62, |v102|, |v103|, v62                        // 00000000286C: D1D3033E 04FACF66
	ds_write_b32 v11, v62 offset:16896                         // 000000002874: D81A4200 00003E0B
	s_waitcnt lgkmcnt(0)                                       // 00000000287C: BF8CC07F
	s_barrier                                                  // 000000002880: BF8A0000
	ds_read_b32 v80, v10 offset:16896                          // 000000002884: D86C4200 5000000A
	ds_read_b32 v81, v10 offset:16960                          // 00000000288C: D86C4240 5100000A
	ds_read_b32 v82, v10 offset:17024                          // 000000002894: D86C4280 5200000A
	ds_read_b32 v83, v10 offset:17088                          // 00000000289C: D86C42C0 5300000A
	ds_read_b32 v84, v10 offset:17152                          // 0000000028A4: D86C4300 5400000A
	ds_read_b32 v85, v10 offset:17216                          // 0000000028AC: D86C4340 5500000A
	ds_read_b32 v86, v10 offset:17280                          // 0000000028B4: D86C4380 5600000A
	ds_read_b32 v87, v10 offset:17344                          // 0000000028BC: D86C43C0 5700000A
	ds_read_b32 v88, v10 offset:17408                          // 0000000028C4: D86C4400 5800000A
	ds_read_b32 v89, v10 offset:17472                          // 0000000028CC: D86C4440 5900000A
	ds_read_b32 v90, v10 offset:17536                          // 0000000028D4: D86C4480 5A00000A
	ds_read_b32 v91, v10 offset:17600                          // 0000000028DC: D86C44C0 5B00000A
	ds_read_b32 v92, v10 offset:17664                          // 0000000028E4: D86C4500 5C00000A
	ds_read_b32 v93, v10 offset:17728                          // 0000000028EC: D86C4540 5D00000A
	ds_read_b32 v94, v10 offset:17792                          // 0000000028F4: D86C4580 5E00000A
	ds_read_b32 v95, v10 offset:17856                          // 0000000028FC: D86C45C0 5F00000A
	s_waitcnt lgkmcnt(0)                                       // 000000002904: BF8CC07F
	v_max3_f32 v62, |v80|, |v81|, v62                          // 000000002908: D1D3033E 04FAA350
	v_max3_f32 v62, |v82|, |v83|, v62                          // 000000002910: D1D3033E 04FAA752
	v_max3_f32 v62, |v84|, |v85|, v62                          // 000000002918: D1D3033E 04FAAB54
	v_max3_f32 v62, |v86|, |v87|, v62                          // 000000002920: D1D3033E 04FAAF56
	v_max3_f32 v62, |v88|, |v89|, v62                          // 000000002928: D1D3033E 04FAB358
	v_max3_f32 v62, |v90|, |v91|, v62                          // 000000002930: D1D3033E 04FAB75A
	v_max3_f32 v62, |v92|, |v93|, v62                          // 000000002938: D1D3033E 04FABB5C
	v_max3_f32 v62, |v94|, |v95|, v62                          // 000000002940: D1D3033E 04FABF5E
	v_rcp_f32_e32 v62, v62                                     // 000000002948: 7E7C453E
	s_nop 1                                                    // 00000000294C: BF800001
	v_mul_f32_e32 v62, 0x43700000, v62                         // 000000002950: 0A7C7CFF 43700000
	v_mul_f32_e32 v96, v62, v96                                // 000000002958: 0AC0C13E
	v_mul_f32_e32 v97, v62, v97                                // 00000000295C: 0AC2C33E
	v_mul_f32_e32 v98, v62, v98                                // 000000002960: 0AC4C53E
	v_mul_f32_e32 v99, v62, v99                                // 000000002964: 0AC6C73E
	v_mul_f32_e32 v100, v62, v100                              // 000000002968: 0AC8C93E
	v_mul_f32_e32 v101, v62, v101                              // 00000000296C: 0ACACB3E
	v_mul_f32_e32 v102, v62, v102                              // 000000002970: 0ACCCD3E
	v_mul_f32_e32 v103, v62, v103                              // 000000002974: 0ACECF3E
	v_rcp_f32_e32 v54, v62                                     // 000000002978: 7E6C453E
	v_cvt_pk_fp8_f32 v96, v96, v97                             // 00000000297C: D2A20060 0002C360
	v_cvt_pk_fp8_f32 v96, v98, v99 op_sel:[0,0,1]              // 000000002984: D2A24060 0002C762
	v_cvt_pk_fp8_f32 v97, v100, v101                           // 00000000298C: D2A20061 0002CB64
	v_cvt_pk_fp8_f32 v97, v102, v103 op_sel:[0,0,1]            // 000000002994: D2A24061 0002CF66
	ds_write_b32 v13, v96 offset:25088                         // 00000000299C: D81A6200 0000600D
	ds_write_b32 v13, v97 offset:26112                         // 0000000029A4: D81A6600 0000610D
	s_waitcnt lgkmcnt(0)                                       // 0000000029AC: BF8CC07F
	s_barrier                                                  // 0000000029B0: BF8A0000
	v_and_b32_e32 v54, v9, v54                                 // 0000000029B4: 266C6D09
	ds_read_b64 v[96:97], v12 offset:25088                     // 0000000029B8: D8EC6200 6000000C
	ds_read_b64 v[98:99], v12 offset:25216                     // 0000000029C0: D8EC6280 6200000C
	ds_read_b64 v[100:101], v12 offset:26112                   // 0000000029C8: D8EC6600 6400000C
	ds_read_b64 v[102:103], v12 offset:26240                   // 0000000029D0: D8EC6680 6600000C
	v_mov_b32_e32 v224, 0                                      // 0000000029D8: 7FC00280
	v_mov_b32_e32 v225, 0                                      // 0000000029DC: 7FC20280
	v_mov_b32_e32 v226, 0                                      // 0000000029E0: 7FC40280
	v_mov_b32_e32 v227, 0                                      // 0000000029E4: 7FC60280
	v_mov_b32_e32 v192, 0                                      // 0000000029E8: 7F800280
	v_mov_b32_e32 v193, 0                                      // 0000000029EC: 7F820280
	v_mov_b32_e32 v194, 0                                      // 0000000029F0: 7F840280
	v_mov_b32_e32 v195, 0                                      // 0000000029F4: 7F860280
	v_mov_b32_e32 v196, 0                                      // 0000000029F8: 7F880280
	v_mov_b32_e32 v197, 0                                      // 0000000029FC: 7F8A0280
	v_mov_b32_e32 v198, 0                                      // 000000002A00: 7F8C0280
	v_mov_b32_e32 v199, 0                                      // 000000002A04: 7F8E0280
	v_or_b32_dpp v54, v54, v54 row_shr:8 row_mask:0xf bank_mask:0xf bound_ctrl:1// 000000002A08: 286C6CFA FF091836
	s_waitcnt vmcnt(8) lgkmcnt(0)                              // 000000002A10: BF8C0078
	s_barrier                                                  // 000000002A14: BF8A0000
	s_cmp_lt_u32 s73, 16                                       // 000000002A18: BF0A9049
	s_cbranch_scc1 label_0977                                  // 000000002A1C: BF85076F
	s_cmp_lt_i32 s7, 2                                         // 000000002A20: BF048207
	s_cbranch_scc0 label_05C2                                  // 000000002A24: BF8403B8

0000000000002a28 <label_020A>:
	s_waitcnt vmcnt(8) lgkmcnt(0)                              // 000000002A28: BF8C0078
	v_mul_u32_u24_dpp v41, v20, v68 row_newbcast:0 row_mask:0xf bank_mask:0xf// 000000002A2C: 105288FA FF015014
	v_mul_u32_u24_dpp v42, v20, v68 row_newbcast:4 row_mask:0xf bank_mask:0xf// 000000002A34: 105488FA FF015414
	v_mul_u32_u24_dpp v43, v20, v68 row_newbcast:8 row_mask:0xf bank_mask:0xf// 000000002A3C: 105688FA FF015814
	v_mul_u32_u24_dpp v44, v20, v68 row_newbcast:12 row_mask:0xf bank_mask:0xf// 000000002A44: 105888FA FF015C14
	v_add_u32_e32 v29, v41, v6                                 // 000000002A4C: 683A0D29
	v_add_u32_e32 v30, v42, v6                                 // 000000002A50: 683C0D2A
	v_add_u32_e32 v31, v43, v6                                 // 000000002A54: 683E0D2B
	v_add_u32_e32 v32, v44, v6                                 // 000000002A58: 68400D2C
	v_mul_u32_u24_dpp v41, v20, v78 quad_perm:[0,0,0,0] row_mask:0xf bank_mask:0xf// 000000002A5C: 10529CFA FF000014
	v_add_u32_e32 v3, v41, v74                                 // 000000002A64: 68069529
	v_mul_u32_u24_dpp v41, v20, v78 quad_perm:[0,0,0,0] row_mask:0xf bank_mask:0xf// 000000002A68: 10529CFA FF000014
	v_add_u32_e32 v71, v41, v75                                // 000000002A70: 688E9729
	v_mfma_f32_16x16x32_fp8_fp8 v[128:131], a[0:1], v[96:97], 0// 000000002A74: D3F30080 0A02C100
	v_mfma_f32_16x16x32_fp8_fp8 v[128:131], a[2:3], v[98:99], v[128:131]// 000000002A7C: D3F30080 0E02C502
	buffer_load_dwordx4 a[32:35], v29, s[16:19], 0 offen       // 000000002A84: E05C1000 8084201D
	v_mfma_f32_16x16x32_fp8_fp8 v[128:131], a[4:5], v[100:101], v[128:131]// 000000002A8C: D3F30080 0E02C904
	v_mfma_f32_16x16x32_fp8_fp8 v[128:131], a[6:7], v[102:103], v[128:131]// 000000002A94: D3F30080 0E02CD06
	buffer_load_dword v19, v1, s[24:27], 0 offen               // 000000002A9C: E0501000 80061301
	v_mfma_f32_16x16x32_fp8_fp8 v[132:135], a[8:9], v[96:97], 0// 000000002AA4: D3F30084 0A02C108
	v_mfma_f32_16x16x32_fp8_fp8 v[132:135], a[10:11], v[98:99], v[132:135]// 000000002AAC: D3F30084 0E12C50A
	buffer_load_dwordx4 a[36:39], v29, s[16:19], 0 offen offset:1024// 000000002AB4: E05C1400 8084241D
	v_mfma_f32_16x16x32_fp8_fp8 v[132:135], a[12:13], v[100:101], v[132:135]// 000000002ABC: D3F30084 0E12C90C
	v_mfma_f32_16x16x32_fp8_fp8 v[132:135], a[14:15], v[102:103], v[132:135]// 000000002AC4: D3F30084 0E12CD0E
	v_mfma_f32_16x16x32_fp8_fp8 v[136:139], a[16:17], v[96:97], 0// 000000002ACC: D3F30088 0A02C110
	v_mfma_f32_16x16x32_fp8_fp8 v[136:139], a[18:19], v[98:99], v[136:139]// 000000002AD4: D3F30088 0E22C512
	buffer_load_dwordx4 a[40:43], v30, s[16:19], 0 offen       // 000000002ADC: E05C1000 8084281E
	v_mfma_f32_16x16x32_fp8_fp8 v[136:139], a[20:21], v[100:101], v[136:139]// 000000002AE4: D3F30088 0E22C914
	v_mfma_f32_16x16x32_fp8_fp8 v[136:139], a[22:23], v[102:103], v[136:139]// 000000002AEC: D3F30088 0E22CD16
	v_mfma_f32_16x16x32_fp8_fp8 v[140:143], a[24:25], v[96:97], 0// 000000002AF4: D3F3008C 0A02C118
	v_mfma_f32_16x16x32_fp8_fp8 v[140:143], a[26:27], v[98:99], v[140:143]// 000000002AFC: D3F3008C 0E32C51A
	buffer_load_dwordx4 a[44:47], v30, s[16:19], 0 offen offset:1024// 000000002B04: E05C1400 80842C1E
	v_mfma_f32_16x16x32_fp8_fp8 v[140:143], a[28:29], v[100:101], v[140:143]// 000000002B0C: D3F3008C 0E32C91C
	v_mfma_f32_16x16x32_fp8_fp8 v[140:143], a[30:31], v[102:103], v[140:143]// 000000002B14: D3F3008C 0E32CD1E
	buffer_load_dword v53, v3, s[32:35], 0 offen               // 000000002B1C: E0501000 80083503
	v_mov_b32_dpp v41, v52 row_shr:4 row_mask:0xf bank_mask:0xf// 000000002B24: 7E5202FA FF011434
	v_mov_b32_dpp v42, v52 row_shl:4 row_mask:0xf bank_mask:0xf// 000000002B2C: 7E5402FA FF010434
	v_cndmask_b32_e64 v248, v52, v41, s[44:45]                 // 000000002B34: D10000F8 00B25334
	v_cndmask_b32_e64 v249, v42, v52, s[44:45]                 // 000000002B3C: D10000F9 00B2692A
	v_mov_b32_dpp v41, v72 row_shr:4 row_mask:0xf bank_mask:0xf// 000000002B44: 7E5202FA FF011448
	v_mov_b32_dpp v42, v72 row_shl:4 row_mask:0xf bank_mask:0xf// 000000002B4C: 7E5402FA FF010448
	v_cndmask_b32_e64 v252, v72, v41, s[44:45]                 // 000000002B54: D10000FC 00B25348
	v_cndmask_b32_e64 v253, v42, v72, s[44:45]                 // 000000002B5C: D10000FD 00B2912A
	v_or_b32_dpp v128, v136, v128 row_shr:8 row_mask:0xf bank_mask:0xf bound_ctrl:1// 000000002B64: 290100FA FF091888
	v_or_b32_dpp v129, v137, v129 row_shr:8 row_mask:0xf bank_mask:0xf bound_ctrl:1// 000000002B6C: 290302FA FF091889
	v_or_b32_dpp v130, v138, v130 row_shr:8 row_mask:0xf bank_mask:0xf bound_ctrl:1// 000000002B74: 290504FA FF09188A
	v_or_b32_dpp v131, v139, v131 row_shr:8 row_mask:0xf bank_mask:0xf bound_ctrl:1// 000000002B7C: 290706FA FF09188B
	v_or_b32_dpp v132, v140, v132 row_shr:8 row_mask:0xf bank_mask:0xf bound_ctrl:1// 000000002B84: 290908FA FF09188C
	v_or_b32_dpp v133, v141, v133 row_shr:8 row_mask:0xf bank_mask:0xf bound_ctrl:1// 000000002B8C: 290B0AFA FF09188D
	v_or_b32_dpp v134, v142, v134 row_shr:8 row_mask:0xf bank_mask:0xf bound_ctrl:1// 000000002B94: 290D0CFA FF09188E
	v_or_b32_dpp v135, v143, v135 row_shr:8 row_mask:0xf bank_mask:0xf bound_ctrl:1// 000000002B9C: 290F0EFA FF09188F
	buffer_load_dword v73, v71, s[36:39], 0 offen              // 000000002BA4: E0501000 80094947
	v_mul_f32_e32 v128, v54, v128                              // 000000002BAC: 0B010136
	v_mul_f32_e32 v129, v54, v129                              // 000000002BB0: 0B030336
	v_mul_f32_e32 v130, v54, v130                              // 000000002BB4: 0B050536
	v_mul_f32_e32 v131, v54, v131                              // 000000002BB8: 0B070736
	v_mul_f32_e32 v132, v54, v132                              // 000000002BBC: 0B090936
	v_mul_f32_e32 v133, v54, v133                              // 000000002BC0: 0B0B0B36
	v_mul_f32_e32 v134, v54, v134                              // 000000002BC4: 0B0D0D36
	v_mul_f32_e32 v135, v54, v135                              // 000000002BC8: 0B0F0F36
	buffer_load_dwordx4 a[48:51], v31, s[16:19], 0 offen       // 000000002BCC: E05C1000 8084301F
	v_mul_f32_dpp v128, v248, v128 quad_perm:[0,0,0,0] row_mask:0xf bank_mask:0xf// 000000002BD4: 0B0100FA FF0000F8
	v_mul_f32_dpp v129, v248, v129 quad_perm:[1,1,1,1] row_mask:0xf bank_mask:0xf// 000000002BDC: 0B0302FA FF0055F8
	v_mul_f32_dpp v130, v248, v130 quad_perm:[2,2,2,2] row_mask:0xf bank_mask:0xf// 000000002BE4: 0B0504FA FF00AAF8
	v_mul_f32_dpp v131, v248, v131 quad_perm:[3,3,3,3] row_mask:0xf bank_mask:0xf// 000000002BEC: 0B0706FA FF00FFF8
	v_mul_f32_dpp v132, v249, v132 quad_perm:[0,0,0,0] row_mask:0xf bank_mask:0xf// 000000002BF4: 0B0908FA FF0000F9
	v_mul_f32_dpp v133, v249, v133 quad_perm:[1,1,1,1] row_mask:0xf bank_mask:0xf// 000000002BFC: 0B0B0AFA FF0055F9
	v_mul_f32_dpp v134, v249, v134 quad_perm:[2,2,2,2] row_mask:0xf bank_mask:0xf// 000000002C04: 0B0D0CFA FF00AAF9
	v_mul_f32_dpp v135, v249, v135 quad_perm:[3,3,3,3] row_mask:0xf bank_mask:0xf// 000000002C0C: 0B0F0EFA FF00FFF9
	buffer_load_dwordx4 a[52:55], v31, s[16:19], 0 offen offset:1024// 000000002C14: E05C1400 8084341F
	v_mov_b32_e32 v62, v128                                    // 000000002C1C: 7E7C0380
	v_max3_f32 v62, v128, v129, v62                            // 000000002C20: D1D3003E 04FB0380
	v_max3_f32 v62, v130, v131, v62                            // 000000002C28: D1D3003E 04FB0782
	v_max3_f32 v62, v132, v133, v62                            // 000000002C30: D1D3003E 04FB0B84
	v_max3_f32 v62, v134, v135, v62                            // 000000002C38: D1D3003E 04FB0F86
	ds_write_b32 v11, v62 offset:16896                         // 000000002C40: D81A4200 00003E0B
	buffer_load_dwordx4 a[56:59], v32, s[16:19], 0 offen       // 000000002C48: E05C1000 80843820
	v_mul_u32_u24_dpp v41, v20, v68 row_newbcast:1 row_mask:0xf bank_mask:0xf// 000000002C50: 105288FA FF015114
	v_mul_u32_u24_dpp v42, v20, v68 row_newbcast:5 row_mask:0xf bank_mask:0xf// 000000002C58: 105488FA FF015514
	v_mul_u32_u24_dpp v43, v20, v68 row_newbcast:9 row_mask:0xf bank_mask:0xf// 000000002C60: 105688FA FF015914
	v_mul_u32_u24_dpp v44, v20, v68 row_newbcast:13 row_mask:0xf bank_mask:0xf// 000000002C68: 105888FA FF015D14
	v_add_u32_e32 v37, v41, v7                                 // 000000002C70: 684A0F29
	v_add_u32_e32 v38, v42, v7                                 // 000000002C74: 684C0F2A
	v_add_u32_e32 v39, v43, v7                                 // 000000002C78: 684E0F2B
	v_add_u32_e32 v40, v44, v7                                 // 000000002C7C: 68500F2C
	s_waitcnt lgkmcnt(0)                                       // 000000002C80: BF8CC07F
	s_barrier                                                  // 000000002C84: BF8A0000
	ds_read_b32 v80, v10 offset:16896                          // 000000002C88: D86C4200 5000000A
	ds_read_b32 v81, v10 offset:16960                          // 000000002C90: D86C4240 5100000A
	ds_read_b32 v82, v10 offset:17024                          // 000000002C98: D86C4280 5200000A
	ds_read_b32 v83, v10 offset:17088                          // 000000002CA0: D86C42C0 5300000A
	ds_read_b32 v84, v10 offset:17152                          // 000000002CA8: D86C4300 5400000A
	ds_read_b32 v85, v10 offset:17216                          // 000000002CB0: D86C4340 5500000A
	ds_read_b32 v86, v10 offset:17280                          // 000000002CB8: D86C4380 5600000A
	ds_read_b32 v87, v10 offset:17344                          // 000000002CC0: D86C43C0 5700000A
	ds_read_b32 v88, v10 offset:17408                          // 000000002CC8: D86C4400 5800000A
	ds_read_b32 v89, v10 offset:17472                          // 000000002CD0: D86C4440 5900000A
	ds_read_b32 v90, v10 offset:17536                          // 000000002CD8: D86C4480 5A00000A
	ds_read_b32 v91, v10 offset:17600                          // 000000002CE0: D86C44C0 5B00000A
	ds_read_b32 v92, v10 offset:17664                          // 000000002CE8: D86C4500 5C00000A
	ds_read_b32 v93, v10 offset:17728                          // 000000002CF0: D86C4540 5D00000A
	ds_read_b32 v94, v10 offset:17792                          // 000000002CF8: D86C4580 5E00000A
	ds_read_b32 v95, v10 offset:17856                          // 000000002D00: D86C45C0 5F00000A
	buffer_load_dwordx4 a[60:63], v32, s[16:19], 0 offen offset:1024// 000000002D08: E05C1400 80843C20
	v_mul_f32_e32 v224, v63, v224                              // 000000002D10: 0BC1C13F
	v_mul_f32_e32 v225, v63, v225                              // 000000002D14: 0BC3C33F
	v_mul_f32_e32 v226, v63, v226                              // 000000002D18: 0BC5C53F
	v_mul_f32_e32 v227, v63, v227                              // 000000002D1C: 0BC7C73F
	v_or_b32_dpp v192, v196, v192 row_shr:8 row_mask:0xf bank_mask:0xf bound_ctrl:1// 000000002D20: 298180FA FF0918C4
	v_or_b32_dpp v193, v197, v193 row_shr:8 row_mask:0xf bank_mask:0xf bound_ctrl:1// 000000002D28: 298382FA FF0918C5
	v_or_b32_dpp v194, v198, v194 row_shr:8 row_mask:0xf bank_mask:0xf bound_ctrl:1// 000000002D30: 298584FA FF0918C6
	v_or_b32_dpp v195, v199, v195 row_shr:8 row_mask:0xf bank_mask:0xf bound_ctrl:1// 000000002D38: 298786FA FF0918C7
	s_waitcnt lgkmcnt(0)                                       // 000000002D40: BF8CC07F
	v_max3_f32 v62, v80, v81, v62                              // 000000002D44: D1D3003E 04FAA350
	v_max3_f32 v62, v82, v83, v62                              // 000000002D4C: D1D3003E 04FAA752
	v_max3_f32 v62, v84, v85, v62                              // 000000002D54: D1D3003E 04FAAB54
	v_max3_f32 v62, v86, v87, v62                              // 000000002D5C: D1D3003E 04FAAF56
	v_max3_f32 v62, v88, v89, v62                              // 000000002D64: D1D3003E 04FAB358
	v_max3_f32 v62, v90, v91, v62                              // 000000002D6C: D1D3003E 04FAB75A
	v_max3_f32 v62, v92, v93, v62                              // 000000002D74: D1D3003E 04FABB5C
	v_max3_f32 v62, v94, v95, v62                              // 000000002D7C: D1D3003E 04FABF5E
	buffer_load_dwordx4 a[96:99], v37, s[20:23], 0 offen       // 000000002D84: E05C1000 80856025
	v_cmp_eq_u32_e64 s[40:41], v69, v14                        // 000000002D8C: D0CA0028 00021D45
	s_nop 1                                                    // 000000002D94: BF800001
	v_mov_b32_dpp v41, v62 row_ror:8 row_mask:0xf bank_mask:0xf// 000000002D98: 7E5202FA FF01283E
	v_max_f32_e32 v62, v62, v41                                // 000000002DA0: 167C533E
	v_max_f32_e32 v18, v62, v14                                // 000000002DA4: 16241D3E
	v_mul_f32_e32 v67, s64, v18                                // 000000002DA8: 0A862440
	v_fma_f32 v128, v128, s64, -v67                            // 000000002DAC: D1CB0080 850C8180
	v_fma_f32 v129, v129, s64, -v67                            // 000000002DB4: D1CB0081 850C8181
	v_fma_f32 v130, v130, s64, -v67                            // 000000002DBC: D1CB0082 850C8182
	v_fma_f32 v131, v131, s64, -v67                            // 000000002DC4: D1CB0083 850C8183
	v_fma_f32 v132, v132, s64, -v67                            // 000000002DCC: D1CB0084 850C8184
	v_fma_f32 v133, v133, s64, -v67                            // 000000002DD4: D1CB0085 850C8185
	v_fma_f32 v134, v134, s64, -v67                            // 000000002DDC: D1CB0086 850C8186
	v_fma_f32 v135, v135, s64, -v67                            // 000000002DE4: D1CB0087 850C8187
	buffer_load_dwordx4 a[100:103], v38, s[20:23], 0 offen     // 000000002DEC: E05C1000 80856426
	v_exp_f32_e32 v128, v128                                   // 000000002DF4: 7F004180
	v_exp_f32_e32 v129, v129                                   // 000000002DF8: 7F024181
	v_exp_f32_e32 v130, v130                                   // 000000002DFC: 7F044182
	v_exp_f32_e32 v131, v131                                   // 000000002E00: 7F064183
	v_exp_f32_e32 v132, v132                                   // 000000002E04: 7F084184
	v_exp_f32_e32 v133, v133                                   // 000000002E08: 7F0A4185
	v_exp_f32_e32 v134, v134                                   // 000000002E0C: 7F0C4186
	v_exp_f32_e32 v135, v135                                   // 000000002E10: 7F0E4187
	buffer_load_dwordx4 a[104:107], v39, s[20:23], 0 offen     // 000000002E14: E05C1000 80856827
	v_mul_f32_dpp v240, v252, v128 quad_perm:[0,0,0,0] row_mask:0xf bank_mask:0xf// 000000002E1C: 0BE100FA FF0000FC
	v_mul_f32_dpp v241, v252, v129 quad_perm:[1,1,1,1] row_mask:0xf bank_mask:0xf// 000000002E24: 0BE302FA FF0055FC
	v_mul_f32_dpp v242, v252, v130 quad_perm:[2,2,2,2] row_mask:0xf bank_mask:0xf// 000000002E2C: 0BE504FA FF00AAFC
	v_mul_f32_dpp v243, v252, v131 quad_perm:[3,3,3,3] row_mask:0xf bank_mask:0xf// 000000002E34: 0BE706FA FF00FFFC
	v_mul_f32_dpp v244, v253, v132 quad_perm:[0,0,0,0] row_mask:0xf bank_mask:0xf// 000000002E3C: 0BE908FA FF0000FD
	v_mul_f32_dpp v245, v253, v133 quad_perm:[1,1,1,1] row_mask:0xf bank_mask:0xf// 000000002E44: 0BEB0AFA FF0055FD
	v_mul_f32_dpp v246, v253, v134 quad_perm:[2,2,2,2] row_mask:0xf bank_mask:0xf// 000000002E4C: 0BED0CFA FF00AAFD
	v_mul_f32_dpp v247, v253, v135 quad_perm:[3,3,3,3] row_mask:0xf bank_mask:0xf// 000000002E54: 0BEF0EFA FF00FFFD
	v_mov_b32_e32 v62, 0x358637bd                              // 000000002E5C: 7E7C02FF 358637BD
	v_max3_f32 v62, |v240|, |v241|, v62                        // 000000002E64: D1D3033E 04FBE3F0
	v_max3_f32 v62, |v242|, |v243|, v62                        // 000000002E6C: D1D3033E 04FBE7F2
	v_max3_f32 v62, |v244|, |v245|, v62                        // 000000002E74: D1D3033E 04FBEBF4
	v_max3_f32 v62, |v246|, |v247|, v62                        // 000000002E7C: D1D3033E 04FBEFF6
	buffer_load_dwordx4 a[108:111], v40, s[20:23], 0 offen     // 000000002E84: E05C1000 80856C28
	ds_write_b32 v11, v62 offset:20992                         // 000000002E8C: D81A5200 00003E0B
	v_sub_f32_e32 v63, v14, v18                                // 000000002E94: 047E250E
	v_cndmask_b32_e64 v63, v63, 0, s[40:41]                    // 000000002E98: D100003F 00A1013F
	v_mov_b32_e32 v14, v18                                     // 000000002EA0: 7E1C0312
	v_mul_f32_e32 v63, s64, v63                                // 000000002EA4: 0A7E7E40
	v_exp_f32_e32 v63, v63                                     // 000000002EA8: 7E7E413F
	s_waitcnt lgkmcnt(0)                                       // 000000002EAC: BF8CC07F
	s_barrier                                                  // 000000002EB0: BF8A0000
	ds_read_b32 v80, v10 offset:20992                          // 000000002EB4: D86C5200 5000000A
	ds_read_b32 v81, v10 offset:21056                          // 000000002EBC: D86C5240 5100000A
	ds_read_b32 v82, v10 offset:21120                          // 000000002EC4: D86C5280 5200000A
	ds_read_b32 v83, v10 offset:21184                          // 000000002ECC: D86C52C0 5300000A
	ds_read_b32 v84, v10 offset:21248                          // 000000002ED4: D86C5300 5400000A
	ds_read_b32 v85, v10 offset:21312                          // 000000002EDC: D86C5340 5500000A
	ds_read_b32 v86, v10 offset:21376                          // 000000002EE4: D86C5380 5600000A
	ds_read_b32 v87, v10 offset:21440                          // 000000002EEC: D86C53C0 5700000A
	ds_read_b32 v88, v10 offset:21504                          // 000000002EF4: D86C5400 5800000A
	ds_read_b32 v89, v10 offset:21568                          // 000000002EFC: D86C5440 5900000A
	ds_read_b32 v90, v10 offset:21632                          // 000000002F04: D86C5480 5A00000A
	ds_read_b32 v91, v10 offset:21696                          // 000000002F0C: D86C54C0 5B00000A
	ds_read_b32 v92, v10 offset:21760                          // 000000002F14: D86C5500 5C00000A
	ds_read_b32 v93, v10 offset:21824                          // 000000002F1C: D86C5540 5D00000A
	ds_read_b32 v94, v10 offset:21888                          // 000000002F24: D86C5580 5E00000A
	ds_read_b32 v95, v10 offset:21952                          // 000000002F2C: D86C55C0 5F00000A
	v_mul_f32_e32 v47, v63, v47                                // 000000002F34: 0A5E5F3F
	v_mov_b32_e32 v51, v128                                    // 000000002F38: 7E660380
	v_add_f32_e32 v51, v129, v51                               // 000000002F3C: 02666781
	v_add_f32_e32 v51, v130, v51                               // 000000002F40: 02666782
	v_add_f32_e32 v51, v131, v51                               // 000000002F44: 02666783
	v_add_f32_e32 v51, v132, v51                               // 000000002F48: 02666784
	v_add_f32_e32 v51, v133, v51                               // 000000002F4C: 02666785
	v_add_f32_e32 v51, v134, v51                               // 000000002F50: 02666786
	v_add_f32_e32 v51, v135, v51                               // 000000002F54: 02666787
	v_add_f32_e32 v47, v51, v47                                // 000000002F58: 025E5F33
	s_waitcnt lgkmcnt(0)                                       // 000000002F5C: BF8CC07F
	v_max3_f32 v62, |v80|, |v81|, v62                          // 000000002F60: D1D3033E 04FAA350
	v_max3_f32 v62, |v82|, |v83|, v62                          // 000000002F68: D1D3033E 04FAA752
	v_max3_f32 v62, |v84|, |v85|, v62                          // 000000002F70: D1D3033E 04FAAB54
	v_max3_f32 v62, |v86|, |v87|, v62                          // 000000002F78: D1D3033E 04FAAF56
	v_max3_f32 v62, |v88|, |v89|, v62                          // 000000002F80: D1D3033E 04FAB358
	v_max3_f32 v62, |v90|, |v91|, v62                          // 000000002F88: D1D3033E 04FAB75A
	v_max3_f32 v62, |v92|, |v93|, v62                          // 000000002F90: D1D3033E 04FABB5C
	v_max3_f32 v62, |v94|, |v95|, v62                          // 000000002F98: D1D3033E 04FABF5E
	s_nop 2                                                    // 000000002FA0: BF800002
	v_mov_b32_dpp v41, v62 row_ror:8 row_mask:0xf bank_mask:0xf// 000000002FA4: 7E5202FA FF01283E
	v_max_f32_e32 v62, v62, v41                                // 000000002FAC: 167C533E
	v_rcp_f32_e32 v62, v62                                     // 000000002FB0: 7E7C453E
	s_nop 1                                                    // 000000002FB4: BF800001
	v_mul_f32_e32 v62, 0x43700000, v62                         // 000000002FB8: 0A7C7CFF 43700000
	v_mul_f32_e32 v128, v62, v240                              // 000000002FC0: 0B01E13E
	v_mul_f32_e32 v129, v62, v241                              // 000000002FC4: 0B03E33E
	v_mul_f32_e32 v130, v62, v242                              // 000000002FC8: 0B05E53E
	v_mul_f32_e32 v131, v62, v243                              // 000000002FCC: 0B07E73E
	v_mul_f32_e32 v132, v62, v244                              // 000000002FD0: 0B09E93E
	v_mul_f32_e32 v133, v62, v245                              // 000000002FD4: 0B0BEB3E
	v_mul_f32_e32 v134, v62, v246                              // 000000002FD8: 0B0DED3E
	v_mul_f32_e32 v135, v62, v247                              // 000000002FDC: 0B0FEF3E
	v_cvt_pk_fp8_f32 v128, v128, v129                          // 000000002FE0: D2A20080 00030380
	v_cvt_pk_fp8_f32 v128, v130, v131 op_sel:[0,0,1]           // 000000002FE8: D2A24080 00030782
	v_cvt_pk_fp8_f32 v129, v132, v133                          // 000000002FF0: D2A20081 00030B84
	v_cvt_pk_fp8_f32 v129, v134, v135 op_sel:[0,0,1]           // 000000002FF8: D2A24081 00030F86
	ds_write_b32 v13, v128 offset:25088                        // 000000003000: D81A6200 0000800D
	ds_write_b32 v13, v129 offset:26112                        // 000000003008: D81A6600 0000810D
	v_mul_f32_e32 v192, v58, v192                              // 000000003010: 0B81813A
	v_mul_f32_e32 v193, v58, v193                              // 000000003014: 0B83833A
	v_mul_f32_e32 v194, v58, v194                              // 000000003018: 0B85853A
	v_mul_f32_e32 v195, v58, v195                              // 00000000301C: 0B87873A
	v_rcp_f32_e32 v58, v62                                     // 000000003020: 7E74453E
	s_waitcnt lgkmcnt(0)                                       // 000000003024: BF8CC07F
	s_barrier                                                  // 000000003028: BF8A0000
	ds_read_b64 v[128:129], v12 offset:25088                   // 00000000302C: D8EC6200 8000000C
	ds_read_b64 v[130:131], v12 offset:25216                   // 000000003034: D8EC6280 8200000C
	ds_read_b64 v[132:133], v12 offset:26112                   // 00000000303C: D8EC6600 8400000C
	ds_read_b64 v[134:135], v12 offset:26240                   // 000000003044: D8EC6680 8600000C
	v_add_f32_e32 v224, v224, v192                             // 00000000304C: 03C181E0
	v_add_f32_e32 v225, v225, v193                             // 000000003050: 03C383E1
	v_add_f32_e32 v226, v226, v194                             // 000000003054: 03C585E2
	v_add_f32_e32 v227, v227, v195                             // 000000003058: 03C787E3
	s_waitcnt lgkmcnt(3)                                       // 00000000305C: BF8CC37F
	v_mov_b32_dpp v136, v128 row_shl:8 row_mask:0xf bank_mask:0xf bound_ctrl:1// 000000003060: 7F1002FA FF090880
	v_and_b32_e32 v128, v128, v9                               // 000000003068: 27001380
	v_mov_b32_dpp v137, v129 row_shl:8 row_mask:0xf bank_mask:0xf bound_ctrl:1// 00000000306C: 7F1202FA FF090881
	v_and_b32_e32 v129, v129, v9                               // 000000003074: 27021381
	s_waitcnt lgkmcnt(2)                                       // 000000003078: BF8CC27F
	v_mov_b32_dpp v138, v130 row_shl:8 row_mask:0xf bank_mask:0xf bound_ctrl:1// 00000000307C: 7F1402FA FF090882
	v_and_b32_e32 v130, v130, v9                               // 000000003084: 27041382
	v_mov_b32_dpp v139, v131 row_shl:8 row_mask:0xf bank_mask:0xf bound_ctrl:1// 000000003088: 7F1602FA FF090883
	v_and_b32_e32 v131, v131, v9                               // 000000003090: 27061383
	s_waitcnt lgkmcnt(1)                                       // 000000003094: BF8CC17F
	v_mov_b32_dpp v140, v132 row_shl:8 row_mask:0xf bank_mask:0xf bound_ctrl:1// 000000003098: 7F1802FA FF090884
	v_and_b32_e32 v132, v132, v9                               // 0000000030A0: 27081384
	v_mov_b32_dpp v141, v133 row_shl:8 row_mask:0xf bank_mask:0xf bound_ctrl:1// 0000000030A4: 7F1A02FA FF090885
	v_and_b32_e32 v133, v133, v9                               // 0000000030AC: 270A1385
	s_waitcnt lgkmcnt(0)                                       // 0000000030B0: BF8CC07F
	v_mov_b32_dpp v142, v134 row_shl:8 row_mask:0xf bank_mask:0xf bound_ctrl:1// 0000000030B4: 7F1C02FA FF090886
	v_and_b32_e32 v134, v134, v9                               // 0000000030BC: 270C1386
	v_mov_b32_dpp v143, v135 row_shl:8 row_mask:0xf bank_mask:0xf bound_ctrl:1// 0000000030C0: 7F1E02FA FF090887
	v_and_b32_e32 v135, v135, v9                               // 0000000030C8: 270E1387
	s_waitcnt vmcnt(15)                                        // 0000000030CC: BF8C0F7F
	v_mfma_f32_16x16x32_fp8_fp8 v[192:195], a[64:65], v[128:129], 0// 0000000030D0: D3F300C0 0A030140
	v_mfma_f32_16x16x32_fp8_fp8 v[192:195], a[66:67], v[130:131], v[192:195]// 0000000030D8: D3F300C0 0F030542
	buffer_load_dwordx4 a[112:115], v37, s[20:23], 0 offen offset:1024// 0000000030E0: E05C1400 80857025
	v_mfma_f32_16x16x32_fp8_fp8 v[192:195], a[68:69], v[132:133], v[192:195]// 0000000030E8: D3F300C0 0F030944
	v_mfma_f32_16x16x32_fp8_fp8 v[192:195], a[70:71], v[134:135], v[192:195]// 0000000030F0: D3F300C0 0F030D46
	v_mfma_f32_16x16x32_fp8_fp8 v[192:195], a[72:73], v[136:137], v[192:195]// 0000000030F8: D3F300C0 0F031148
	v_mfma_f32_16x16x32_fp8_fp8 v[192:195], a[74:75], v[138:139], v[192:195]// 000000003100: D3F300C0 0F03154A
	buffer_load_dwordx4 a[116:119], v38, s[20:23], 0 offen offset:1024// 000000003108: E05C1400 80857426
	v_mfma_f32_16x16x32_fp8_fp8 v[192:195], a[76:77], v[140:141], v[192:195]// 000000003110: D3F300C0 0F03194C
	v_mfma_f32_16x16x32_fp8_fp8 v[192:195], a[78:79], v[142:143], v[192:195]// 000000003118: D3F300C0 0F031D4E
	v_mfma_f32_16x16x32_fp8_fp8 v[196:199], a[80:81], v[128:129], 0// 000000003120: D3F300C4 0A030150
	v_mfma_f32_16x16x32_fp8_fp8 v[196:199], a[82:83], v[130:131], v[196:199]// 000000003128: D3F300C4 0F130552
	buffer_load_dwordx4 a[120:123], v39, s[20:23], 0 offen offset:1024// 000000003130: E05C1400 80857827
	v_mfma_f32_16x16x32_fp8_fp8 v[196:199], a[84:85], v[132:133], v[196:199]// 000000003138: D3F300C4 0F130954
	v_mfma_f32_16x16x32_fp8_fp8 v[196:199], a[86:87], v[134:135], v[196:199]// 000000003140: D3F300C4 0F130D56
	v_mfma_f32_16x16x32_fp8_fp8 v[196:199], a[88:89], v[136:137], v[196:199]// 000000003148: D3F300C4 0F131158
	v_mfma_f32_16x16x32_fp8_fp8 v[196:199], a[90:91], v[138:139], v[196:199]// 000000003150: D3F300C4 0F13155A
	buffer_load_dwordx4 a[124:127], v40, s[20:23], 0 offen offset:1024// 000000003158: E05C1400 80857C28
	v_mfma_f32_16x16x32_fp8_fp8 v[196:199], a[92:93], v[140:141], v[196:199]// 000000003160: D3F300C4 0F13195C
	s_lshr_b32 s57, s70, 4                                     // 000000003168: 8F398446
	s_add_u32 s57, 48, s57                                     // 00000000316C: 803939B0
	v_mfma_f32_16x16x32_fp8_fp8 v[196:199], a[94:95], v[142:143], v[196:199]// 000000003170: D3F300C4 0F131D5E
	s_cmp_ge_u32 s57, s73                                      // 000000003178: BF094939
	s_cselect_b32 s56, 0, s56                                  // 00000000317C: 85383880
	v_add_u32_e32 v1, s56, v1                                  // 000000003180: 68020238
	s_addk_i32 s70, 0x100                                      // 000000003184: B7460100
	s_cmp_lt_i32 s70, s71                                      // 000000003188: BF044746
	s_cbranch_scc0 label_05BF                                  // 00000000318C: BF8401DB
	s_waitcnt vmcnt(8) lgkmcnt(0)                              // 000000003190: BF8C0078
	v_mul_u32_u24_dpp v41, v19, v68 row_newbcast:0 row_mask:0xf bank_mask:0xf// 000000003194: 105288FA FF015013
	v_mul_u32_u24_dpp v42, v19, v68 row_newbcast:4 row_mask:0xf bank_mask:0xf// 00000000319C: 105488FA FF015413
	v_mul_u32_u24_dpp v43, v19, v68 row_newbcast:8 row_mask:0xf bank_mask:0xf// 0000000031A4: 105688FA FF015813
	v_mul_u32_u24_dpp v44, v19, v68 row_newbcast:12 row_mask:0xf bank_mask:0xf// 0000000031AC: 105888FA FF015C13
	v_add_u32_e32 v25, v41, v6                                 // 0000000031B4: 68320D29
	v_add_u32_e32 v26, v42, v6                                 // 0000000031B8: 68340D2A
	v_add_u32_e32 v27, v43, v6                                 // 0000000031BC: 68360D2B
	v_add_u32_e32 v28, v44, v6                                 // 0000000031C0: 68380D2C
	v_mul_u32_u24_dpp v41, v19, v78 quad_perm:[0,0,0,0] row_mask:0xf bank_mask:0xf// 0000000031C4: 10529CFA FF000013
	v_add_u32_e32 v2, v41, v74                                 // 0000000031CC: 68049529
	v_mul_u32_u24_dpp v41, v19, v78 quad_perm:[0,0,0,0] row_mask:0xf bank_mask:0xf// 0000000031D0: 10529CFA FF000013
	v_add_u32_e32 v70, v41, v75                                // 0000000031D8: 688C9729
	v_mfma_f32_16x16x32_fp8_fp8 v[128:131], a[32:33], v[96:97], 0// 0000000031DC: D3F30080 0A02C120
	v_mfma_f32_16x16x32_fp8_fp8 v[128:131], a[34:35], v[98:99], v[128:131]// 0000000031E4: D3F30080 0E02C522
	buffer_load_dwordx4 a[0:3], v25, s[16:19], 0 offen         // 0000000031EC: E05C1000 80840019
	v_mfma_f32_16x16x32_fp8_fp8 v[128:131], a[36:37], v[100:101], v[128:131]// 0000000031F4: D3F30080 0E02C924
	v_mfma_f32_16x16x32_fp8_fp8 v[128:131], a[38:39], v[102:103], v[128:131]// 0000000031FC: D3F30080 0E02CD26
	buffer_load_dword v20, v1, s[24:27], 0 offen               // 000000003204: E0501000 80061401
	v_mfma_f32_16x16x32_fp8_fp8 v[132:135], a[40:41], v[96:97], 0// 00000000320C: D3F30084 0A02C128
	v_mfma_f32_16x16x32_fp8_fp8 v[132:135], a[42:43], v[98:99], v[132:135]// 000000003214: D3F30084 0E12C52A
	buffer_load_dwordx4 a[4:7], v25, s[16:19], 0 offen offset:1024// 00000000321C: E05C1400 80840419
	v_mfma_f32_16x16x32_fp8_fp8 v[132:135], a[44:45], v[100:101], v[132:135]// 000000003224: D3F30084 0E12C92C
	v_mfma_f32_16x16x32_fp8_fp8 v[132:135], a[46:47], v[102:103], v[132:135]// 00000000322C: D3F30084 0E12CD2E
	v_mfma_f32_16x16x32_fp8_fp8 v[136:139], a[48:49], v[96:97], 0// 000000003234: D3F30088 0A02C130
	v_mfma_f32_16x16x32_fp8_fp8 v[136:139], a[50:51], v[98:99], v[136:139]// 00000000323C: D3F30088 0E22C532
	buffer_load_dwordx4 a[8:11], v26, s[16:19], 0 offen        // 000000003244: E05C1000 8084081A
	v_mfma_f32_16x16x32_fp8_fp8 v[136:139], a[52:53], v[100:101], v[136:139]// 00000000324C: D3F30088 0E22C934
	v_mfma_f32_16x16x32_fp8_fp8 v[136:139], a[54:55], v[102:103], v[136:139]// 000000003254: D3F30088 0E22CD36
	v_mfma_f32_16x16x32_fp8_fp8 v[140:143], a[56:57], v[96:97], 0// 00000000325C: D3F3008C 0A02C138
	v_mfma_f32_16x16x32_fp8_fp8 v[140:143], a[58:59], v[98:99], v[140:143]// 000000003264: D3F3008C 0E32C53A
	buffer_load_dwordx4 a[12:15], v26, s[16:19], 0 offen offset:1024// 00000000326C: E05C1400 80840C1A
	v_mfma_f32_16x16x32_fp8_fp8 v[140:143], a[60:61], v[100:101], v[140:143]// 000000003274: D3F3008C 0E32C93C
	v_mfma_f32_16x16x32_fp8_fp8 v[140:143], a[62:63], v[102:103], v[140:143]// 00000000327C: D3F3008C 0E32CD3E
	buffer_load_dword v52, v2, s[32:35], 0 offen               // 000000003284: E0501000 80083402
	v_mov_b32_dpp v41, v53 row_shr:4 row_mask:0xf bank_mask:0xf// 00000000328C: 7E5202FA FF011435
	v_mov_b32_dpp v42, v53 row_shl:4 row_mask:0xf bank_mask:0xf// 000000003294: 7E5402FA FF010435
	v_cndmask_b32_e64 v248, v53, v41, s[44:45]                 // 00000000329C: D10000F8 00B25335
	v_cndmask_b32_e64 v249, v42, v53, s[44:45]                 // 0000000032A4: D10000F9 00B26B2A
	v_mov_b32_dpp v41, v73 row_shr:4 row_mask:0xf bank_mask:0xf// 0000000032AC: 7E5202FA FF011449
	v_mov_b32_dpp v42, v73 row_shl:4 row_mask:0xf bank_mask:0xf// 0000000032B4: 7E5402FA FF010449
	v_cndmask_b32_e64 v252, v73, v41, s[44:45]                 // 0000000032BC: D10000FC 00B25349
	v_cndmask_b32_e64 v253, v42, v73, s[44:45]                 // 0000000032C4: D10000FD 00B2932A
	v_or_b32_dpp v128, v136, v128 row_shr:8 row_mask:0xf bank_mask:0xf bound_ctrl:1// 0000000032CC: 290100FA FF091888
	v_or_b32_dpp v129, v137, v129 row_shr:8 row_mask:0xf bank_mask:0xf bound_ctrl:1// 0000000032D4: 290302FA FF091889
	v_or_b32_dpp v130, v138, v130 row_shr:8 row_mask:0xf bank_mask:0xf bound_ctrl:1// 0000000032DC: 290504FA FF09188A
	v_or_b32_dpp v131, v139, v131 row_shr:8 row_mask:0xf bank_mask:0xf bound_ctrl:1// 0000000032E4: 290706FA FF09188B
	v_or_b32_dpp v132, v140, v132 row_shr:8 row_mask:0xf bank_mask:0xf bound_ctrl:1// 0000000032EC: 290908FA FF09188C
	v_or_b32_dpp v133, v141, v133 row_shr:8 row_mask:0xf bank_mask:0xf bound_ctrl:1// 0000000032F4: 290B0AFA FF09188D
	v_or_b32_dpp v134, v142, v134 row_shr:8 row_mask:0xf bank_mask:0xf bound_ctrl:1// 0000000032FC: 290D0CFA FF09188E
	v_or_b32_dpp v135, v143, v135 row_shr:8 row_mask:0xf bank_mask:0xf bound_ctrl:1// 000000003304: 290F0EFA FF09188F
	buffer_load_dword v72, v70, s[36:39], 0 offen              // 00000000330C: E0501000 80094846
	v_mul_f32_e32 v128, v54, v128                              // 000000003314: 0B010136
	v_mul_f32_e32 v129, v54, v129                              // 000000003318: 0B030336
	v_mul_f32_e32 v130, v54, v130                              // 00000000331C: 0B050536
	v_mul_f32_e32 v131, v54, v131                              // 000000003320: 0B070736
	v_mul_f32_e32 v132, v54, v132                              // 000000003324: 0B090936
	v_mul_f32_e32 v133, v54, v133                              // 000000003328: 0B0B0B36
	v_mul_f32_e32 v134, v54, v134                              // 00000000332C: 0B0D0D36
	v_mul_f32_e32 v135, v54, v135                              // 000000003330: 0B0F0F36
	buffer_load_dwordx4 a[16:19], v27, s[16:19], 0 offen       // 000000003334: E05C1000 8084101B
	v_mul_f32_dpp v128, v248, v128 quad_perm:[0,0,0,0] row_mask:0xf bank_mask:0xf// 00000000333C: 0B0100FA FF0000F8
	v_mul_f32_dpp v129, v248, v129 quad_perm:[1,1,1,1] row_mask:0xf bank_mask:0xf// 000000003344: 0B0302FA FF0055F8
	v_mul_f32_dpp v130, v248, v130 quad_perm:[2,2,2,2] row_mask:0xf bank_mask:0xf// 00000000334C: 0B0504FA FF00AAF8
	v_mul_f32_dpp v131, v248, v131 quad_perm:[3,3,3,3] row_mask:0xf bank_mask:0xf// 000000003354: 0B0706FA FF00FFF8
	v_mul_f32_dpp v132, v249, v132 quad_perm:[0,0,0,0] row_mask:0xf bank_mask:0xf// 00000000335C: 0B0908FA FF0000F9
	v_mul_f32_dpp v133, v249, v133 quad_perm:[1,1,1,1] row_mask:0xf bank_mask:0xf// 000000003364: 0B0B0AFA FF0055F9
	v_mul_f32_dpp v134, v249, v134 quad_perm:[2,2,2,2] row_mask:0xf bank_mask:0xf// 00000000336C: 0B0D0CFA FF00AAF9
	v_mul_f32_dpp v135, v249, v135 quad_perm:[3,3,3,3] row_mask:0xf bank_mask:0xf// 000000003374: 0B0F0EFA FF00FFF9
	buffer_load_dwordx4 a[20:23], v27, s[16:19], 0 offen offset:1024// 00000000337C: E05C1400 8084141B
	v_mov_b32_e32 v62, v128                                    // 000000003384: 7E7C0380
	v_max3_f32 v62, v128, v129, v62                            // 000000003388: D1D3003E 04FB0380
	v_max3_f32 v62, v130, v131, v62                            // 000000003390: D1D3003E 04FB0782
	v_max3_f32 v62, v132, v133, v62                            // 000000003398: D1D3003E 04FB0B84
	v_max3_f32 v62, v134, v135, v62                            // 0000000033A0: D1D3003E 04FB0F86
	ds_write_b32 v11, v62 offset:16896                         // 0000000033A8: D81A4200 00003E0B
	buffer_load_dwordx4 a[24:27], v28, s[16:19], 0 offen       // 0000000033B0: E05C1000 8084181C
	v_mul_u32_u24_dpp v41, v19, v68 row_newbcast:1 row_mask:0xf bank_mask:0xf// 0000000033B8: 105288FA FF015113
	v_mul_u32_u24_dpp v42, v19, v68 row_newbcast:5 row_mask:0xf bank_mask:0xf// 0000000033C0: 105488FA FF015513
	v_mul_u32_u24_dpp v43, v19, v68 row_newbcast:9 row_mask:0xf bank_mask:0xf// 0000000033C8: 105688FA FF015913
	v_mul_u32_u24_dpp v44, v19, v68 row_newbcast:13 row_mask:0xf bank_mask:0xf// 0000000033D0: 105888FA FF015D13
	v_add_u32_e32 v33, v41, v7                                 // 0000000033D8: 68420F29
	v_add_u32_e32 v34, v42, v7                                 // 0000000033DC: 68440F2A
	v_add_u32_e32 v35, v43, v7                                 // 0000000033E0: 68460F2B
	v_add_u32_e32 v36, v44, v7                                 // 0000000033E4: 68480F2C
	s_waitcnt lgkmcnt(0)                                       // 0000000033E8: BF8CC07F
	s_barrier                                                  // 0000000033EC: BF8A0000
	ds_read_b32 v80, v10 offset:16896                          // 0000000033F0: D86C4200 5000000A
	ds_read_b32 v81, v10 offset:16960                          // 0000000033F8: D86C4240 5100000A
	ds_read_b32 v82, v10 offset:17024                          // 000000003400: D86C4280 5200000A
	ds_read_b32 v83, v10 offset:17088                          // 000000003408: D86C42C0 5300000A
	ds_read_b32 v84, v10 offset:17152                          // 000000003410: D86C4300 5400000A
	ds_read_b32 v85, v10 offset:17216                          // 000000003418: D86C4340 5500000A
	ds_read_b32 v86, v10 offset:17280                          // 000000003420: D86C4380 5600000A
	ds_read_b32 v87, v10 offset:17344                          // 000000003428: D86C43C0 5700000A
	ds_read_b32 v88, v10 offset:17408                          // 000000003430: D86C4400 5800000A
	ds_read_b32 v89, v10 offset:17472                          // 000000003438: D86C4440 5900000A
	ds_read_b32 v90, v10 offset:17536                          // 000000003440: D86C4480 5A00000A
	ds_read_b32 v91, v10 offset:17600                          // 000000003448: D86C44C0 5B00000A
	ds_read_b32 v92, v10 offset:17664                          // 000000003450: D86C4500 5C00000A
	ds_read_b32 v93, v10 offset:17728                          // 000000003458: D86C4540 5D00000A
	ds_read_b32 v94, v10 offset:17792                          // 000000003460: D86C4580 5E00000A
	ds_read_b32 v95, v10 offset:17856                          // 000000003468: D86C45C0 5F00000A
	buffer_load_dwordx4 a[28:31], v28, s[16:19], 0 offen offset:1024// 000000003470: E05C1400 80841C1C
	v_mul_f32_e32 v224, v63, v224                              // 000000003478: 0BC1C13F
	v_mul_f32_e32 v225, v63, v225                              // 00000000347C: 0BC3C33F
	v_mul_f32_e32 v226, v63, v226                              // 000000003480: 0BC5C53F
	v_mul_f32_e32 v227, v63, v227                              // 000000003484: 0BC7C73F
	v_or_b32_dpp v192, v196, v192 row_shr:8 row_mask:0xf bank_mask:0xf bound_ctrl:1// 000000003488: 298180FA FF0918C4
	v_or_b32_dpp v193, v197, v193 row_shr:8 row_mask:0xf bank_mask:0xf bound_ctrl:1// 000000003490: 298382FA FF0918C5
	v_or_b32_dpp v194, v198, v194 row_shr:8 row_mask:0xf bank_mask:0xf bound_ctrl:1// 000000003498: 298584FA FF0918C6
	v_or_b32_dpp v195, v199, v195 row_shr:8 row_mask:0xf bank_mask:0xf bound_ctrl:1// 0000000034A0: 298786FA FF0918C7
	s_waitcnt lgkmcnt(0)                                       // 0000000034A8: BF8CC07F
	v_max3_f32 v62, v80, v81, v62                              // 0000000034AC: D1D3003E 04FAA350
	v_max3_f32 v62, v82, v83, v62                              // 0000000034B4: D1D3003E 04FAA752
	v_max3_f32 v62, v84, v85, v62                              // 0000000034BC: D1D3003E 04FAAB54
	v_max3_f32 v62, v86, v87, v62                              // 0000000034C4: D1D3003E 04FAAF56
	v_max3_f32 v62, v88, v89, v62                              // 0000000034CC: D1D3003E 04FAB358
	v_max3_f32 v62, v90, v91, v62                              // 0000000034D4: D1D3003E 04FAB75A
	v_max3_f32 v62, v92, v93, v62                              // 0000000034DC: D1D3003E 04FABB5C
	v_max3_f32 v62, v94, v95, v62                              // 0000000034E4: D1D3003E 04FABF5E
	buffer_load_dwordx4 a[64:67], v33, s[20:23], 0 offen       // 0000000034EC: E05C1000 80854021
	v_cmp_eq_u32_e64 s[40:41], v69, v14                        // 0000000034F4: D0CA0028 00021D45
	s_nop 1                                                    // 0000000034FC: BF800001
	v_mov_b32_dpp v41, v62 row_ror:8 row_mask:0xf bank_mask:0xf// 000000003500: 7E5202FA FF01283E
	v_max_f32_e32 v62, v62, v41                                // 000000003508: 167C533E
	v_max_f32_e32 v18, v62, v14                                // 00000000350C: 16241D3E
	v_mul_f32_e32 v67, s64, v18                                // 000000003510: 0A862440
	v_fma_f32 v128, v128, s64, -v67                            // 000000003514: D1CB0080 850C8180
	v_fma_f32 v129, v129, s64, -v67                            // 00000000351C: D1CB0081 850C8181
	v_fma_f32 v130, v130, s64, -v67                            // 000000003524: D1CB0082 850C8182
	v_fma_f32 v131, v131, s64, -v67                            // 00000000352C: D1CB0083 850C8183
	v_fma_f32 v132, v132, s64, -v67                            // 000000003534: D1CB0084 850C8184
	v_fma_f32 v133, v133, s64, -v67                            // 00000000353C: D1CB0085 850C8185
	v_fma_f32 v134, v134, s64, -v67                            // 000000003544: D1CB0086 850C8186
	v_fma_f32 v135, v135, s64, -v67                            // 00000000354C: D1CB0087 850C8187
	buffer_load_dwordx4 a[68:71], v34, s[20:23], 0 offen       // 000000003554: E05C1000 80854422
	v_exp_f32_e32 v128, v128                                   // 00000000355C: 7F004180
	v_exp_f32_e32 v129, v129                                   // 000000003560: 7F024181
	v_exp_f32_e32 v130, v130                                   // 000000003564: 7F044182
	v_exp_f32_e32 v131, v131                                   // 000000003568: 7F064183
	v_exp_f32_e32 v132, v132                                   // 00000000356C: 7F084184
	v_exp_f32_e32 v133, v133                                   // 000000003570: 7F0A4185
	v_exp_f32_e32 v134, v134                                   // 000000003574: 7F0C4186
	v_exp_f32_e32 v135, v135                                   // 000000003578: 7F0E4187
	buffer_load_dwordx4 a[72:75], v35, s[20:23], 0 offen       // 00000000357C: E05C1000 80854823
	v_mul_f32_dpp v240, v252, v128 quad_perm:[0,0,0,0] row_mask:0xf bank_mask:0xf// 000000003584: 0BE100FA FF0000FC
	v_mul_f32_dpp v241, v252, v129 quad_perm:[1,1,1,1] row_mask:0xf bank_mask:0xf// 00000000358C: 0BE302FA FF0055FC
	v_mul_f32_dpp v242, v252, v130 quad_perm:[2,2,2,2] row_mask:0xf bank_mask:0xf// 000000003594: 0BE504FA FF00AAFC
	v_mul_f32_dpp v243, v252, v131 quad_perm:[3,3,3,3] row_mask:0xf bank_mask:0xf// 00000000359C: 0BE706FA FF00FFFC
	v_mul_f32_dpp v244, v253, v132 quad_perm:[0,0,0,0] row_mask:0xf bank_mask:0xf// 0000000035A4: 0BE908FA FF0000FD
	v_mul_f32_dpp v245, v253, v133 quad_perm:[1,1,1,1] row_mask:0xf bank_mask:0xf// 0000000035AC: 0BEB0AFA FF0055FD
	v_mul_f32_dpp v246, v253, v134 quad_perm:[2,2,2,2] row_mask:0xf bank_mask:0xf// 0000000035B4: 0BED0CFA FF00AAFD
	v_mul_f32_dpp v247, v253, v135 quad_perm:[3,3,3,3] row_mask:0xf bank_mask:0xf// 0000000035BC: 0BEF0EFA FF00FFFD
	v_mov_b32_e32 v62, 0x358637bd                              // 0000000035C4: 7E7C02FF 358637BD
	v_max3_f32 v62, |v240|, |v241|, v62                        // 0000000035CC: D1D3033E 04FBE3F0
	v_max3_f32 v62, |v242|, |v243|, v62                        // 0000000035D4: D1D3033E 04FBE7F2
	v_max3_f32 v62, |v244|, |v245|, v62                        // 0000000035DC: D1D3033E 04FBEBF4
	v_max3_f32 v62, |v246|, |v247|, v62                        // 0000000035E4: D1D3033E 04FBEFF6
	buffer_load_dwordx4 a[76:79], v36, s[20:23], 0 offen       // 0000000035EC: E05C1000 80854C24
	ds_write_b32 v11, v62 offset:20992                         // 0000000035F4: D81A5200 00003E0B
	v_sub_f32_e32 v63, v14, v18                                // 0000000035FC: 047E250E
	v_cndmask_b32_e64 v63, v63, 0, s[40:41]                    // 000000003600: D100003F 00A1013F
	v_mov_b32_e32 v14, v18                                     // 000000003608: 7E1C0312
	v_mul_f32_e32 v63, s64, v63                                // 00000000360C: 0A7E7E40
	v_exp_f32_e32 v63, v63                                     // 000000003610: 7E7E413F
	s_waitcnt lgkmcnt(0)                                       // 000000003614: BF8CC07F
	s_barrier                                                  // 000000003618: BF8A0000
	ds_read_b32 v80, v10 offset:20992                          // 00000000361C: D86C5200 5000000A
	ds_read_b32 v81, v10 offset:21056                          // 000000003624: D86C5240 5100000A
	ds_read_b32 v82, v10 offset:21120                          // 00000000362C: D86C5280 5200000A
	ds_read_b32 v83, v10 offset:21184                          // 000000003634: D86C52C0 5300000A
	ds_read_b32 v84, v10 offset:21248                          // 00000000363C: D86C5300 5400000A
	ds_read_b32 v85, v10 offset:21312                          // 000000003644: D86C5340 5500000A
	ds_read_b32 v86, v10 offset:21376                          // 00000000364C: D86C5380 5600000A
	ds_read_b32 v87, v10 offset:21440                          // 000000003654: D86C53C0 5700000A
	ds_read_b32 v88, v10 offset:21504                          // 00000000365C: D86C5400 5800000A
	ds_read_b32 v89, v10 offset:21568                          // 000000003664: D86C5440 5900000A
	ds_read_b32 v90, v10 offset:21632                          // 00000000366C: D86C5480 5A00000A
	ds_read_b32 v91, v10 offset:21696                          // 000000003674: D86C54C0 5B00000A
	ds_read_b32 v92, v10 offset:21760                          // 00000000367C: D86C5500 5C00000A
	ds_read_b32 v93, v10 offset:21824                          // 000000003684: D86C5540 5D00000A
	ds_read_b32 v94, v10 offset:21888                          // 00000000368C: D86C5580 5E00000A
	ds_read_b32 v95, v10 offset:21952                          // 000000003694: D86C55C0 5F00000A
	v_mul_f32_e32 v47, v63, v47                                // 00000000369C: 0A5E5F3F
	v_mov_b32_e32 v51, v128                                    // 0000000036A0: 7E660380
	v_add_f32_e32 v51, v129, v51                               // 0000000036A4: 02666781
	v_add_f32_e32 v51, v130, v51                               // 0000000036A8: 02666782
	v_add_f32_e32 v51, v131, v51                               // 0000000036AC: 02666783
	v_add_f32_e32 v51, v132, v51                               // 0000000036B0: 02666784
	v_add_f32_e32 v51, v133, v51                               // 0000000036B4: 02666785
	v_add_f32_e32 v51, v134, v51                               // 0000000036B8: 02666786
	v_add_f32_e32 v51, v135, v51                               // 0000000036BC: 02666787
	v_add_f32_e32 v47, v51, v47                                // 0000000036C0: 025E5F33
	s_waitcnt lgkmcnt(0)                                       // 0000000036C4: BF8CC07F
	v_max3_f32 v62, |v80|, |v81|, v62                          // 0000000036C8: D1D3033E 04FAA350
	v_max3_f32 v62, |v82|, |v83|, v62                          // 0000000036D0: D1D3033E 04FAA752
	v_max3_f32 v62, |v84|, |v85|, v62                          // 0000000036D8: D1D3033E 04FAAB54
	v_max3_f32 v62, |v86|, |v87|, v62                          // 0000000036E0: D1D3033E 04FAAF56
	v_max3_f32 v62, |v88|, |v89|, v62                          // 0000000036E8: D1D3033E 04FAB358
	v_max3_f32 v62, |v90|, |v91|, v62                          // 0000000036F0: D1D3033E 04FAB75A
	v_max3_f32 v62, |v92|, |v93|, v62                          // 0000000036F8: D1D3033E 04FABB5C
	v_max3_f32 v62, |v94|, |v95|, v62                          // 000000003700: D1D3033E 04FABF5E
	s_nop 2                                                    // 000000003708: BF800002
	v_mov_b32_dpp v41, v62 row_ror:8 row_mask:0xf bank_mask:0xf// 00000000370C: 7E5202FA FF01283E
	v_max_f32_e32 v62, v62, v41                                // 000000003714: 167C533E
	v_rcp_f32_e32 v62, v62                                     // 000000003718: 7E7C453E
	s_nop 1                                                    // 00000000371C: BF800001
	v_mul_f32_e32 v62, 0x43700000, v62                         // 000000003720: 0A7C7CFF 43700000
	v_mul_f32_e32 v128, v62, v240                              // 000000003728: 0B01E13E
	v_mul_f32_e32 v129, v62, v241                              // 00000000372C: 0B03E33E
	v_mul_f32_e32 v130, v62, v242                              // 000000003730: 0B05E53E
	v_mul_f32_e32 v131, v62, v243                              // 000000003734: 0B07E73E
	v_mul_f32_e32 v132, v62, v244                              // 000000003738: 0B09E93E
	v_mul_f32_e32 v133, v62, v245                              // 00000000373C: 0B0BEB3E
	v_mul_f32_e32 v134, v62, v246                              // 000000003740: 0B0DED3E
	v_mul_f32_e32 v135, v62, v247                              // 000000003744: 0B0FEF3E
	v_cvt_pk_fp8_f32 v128, v128, v129                          // 000000003748: D2A20080 00030380
	v_cvt_pk_fp8_f32 v128, v130, v131 op_sel:[0,0,1]           // 000000003750: D2A24080 00030782
	v_cvt_pk_fp8_f32 v129, v132, v133                          // 000000003758: D2A20081 00030B84
	v_cvt_pk_fp8_f32 v129, v134, v135 op_sel:[0,0,1]           // 000000003760: D2A24081 00030F86
	ds_write_b32 v13, v128 offset:25088                        // 000000003768: D81A6200 0000800D
	ds_write_b32 v13, v129 offset:26112                        // 000000003770: D81A6600 0000810D
	v_mul_f32_e32 v192, v58, v192                              // 000000003778: 0B81813A
	v_mul_f32_e32 v193, v58, v193                              // 00000000377C: 0B83833A
	v_mul_f32_e32 v194, v58, v194                              // 000000003780: 0B85853A
	v_mul_f32_e32 v195, v58, v195                              // 000000003784: 0B87873A
	v_rcp_f32_e32 v58, v62                                     // 000000003788: 7E74453E
	s_waitcnt lgkmcnt(0)                                       // 00000000378C: BF8CC07F
	s_barrier                                                  // 000000003790: BF8A0000
	ds_read_b64 v[128:129], v12 offset:25088                   // 000000003794: D8EC6200 8000000C
	ds_read_b64 v[130:131], v12 offset:25216                   // 00000000379C: D8EC6280 8200000C
	ds_read_b64 v[132:133], v12 offset:26112                   // 0000000037A4: D8EC6600 8400000C
	ds_read_b64 v[134:135], v12 offset:26240                   // 0000000037AC: D8EC6680 8600000C
	v_add_f32_e32 v224, v224, v192                             // 0000000037B4: 03C181E0
	v_add_f32_e32 v225, v225, v193                             // 0000000037B8: 03C383E1
	v_add_f32_e32 v226, v226, v194                             // 0000000037BC: 03C585E2
	v_add_f32_e32 v227, v227, v195                             // 0000000037C0: 03C787E3
	s_waitcnt lgkmcnt(3)                                       // 0000000037C4: BF8CC37F
	v_mov_b32_dpp v136, v128 row_shl:8 row_mask:0xf bank_mask:0xf bound_ctrl:1// 0000000037C8: 7F1002FA FF090880
	v_and_b32_e32 v128, v128, v9                               // 0000000037D0: 27001380
	v_mov_b32_dpp v137, v129 row_shl:8 row_mask:0xf bank_mask:0xf bound_ctrl:1// 0000000037D4: 7F1202FA FF090881
	v_and_b32_e32 v129, v129, v9                               // 0000000037DC: 27021381
	s_waitcnt lgkmcnt(2)                                       // 0000000037E0: BF8CC27F
	v_mov_b32_dpp v138, v130 row_shl:8 row_mask:0xf bank_mask:0xf bound_ctrl:1// 0000000037E4: 7F1402FA FF090882
	v_and_b32_e32 v130, v130, v9                               // 0000000037EC: 27041382
	v_mov_b32_dpp v139, v131 row_shl:8 row_mask:0xf bank_mask:0xf bound_ctrl:1// 0000000037F0: 7F1602FA FF090883
	v_and_b32_e32 v131, v131, v9                               // 0000000037F8: 27061383
	s_waitcnt lgkmcnt(1)                                       // 0000000037FC: BF8CC17F
	v_mov_b32_dpp v140, v132 row_shl:8 row_mask:0xf bank_mask:0xf bound_ctrl:1// 000000003800: 7F1802FA FF090884
	v_and_b32_e32 v132, v132, v9                               // 000000003808: 27081384
	v_mov_b32_dpp v141, v133 row_shl:8 row_mask:0xf bank_mask:0xf bound_ctrl:1// 00000000380C: 7F1A02FA FF090885
	v_and_b32_e32 v133, v133, v9                               // 000000003814: 270A1385
	s_waitcnt lgkmcnt(0)                                       // 000000003818: BF8CC07F
	v_mov_b32_dpp v142, v134 row_shl:8 row_mask:0xf bank_mask:0xf bound_ctrl:1// 00000000381C: 7F1C02FA FF090886
	v_and_b32_e32 v134, v134, v9                               // 000000003824: 270C1386
	v_mov_b32_dpp v143, v135 row_shl:8 row_mask:0xf bank_mask:0xf bound_ctrl:1// 000000003828: 7F1E02FA FF090887
	v_and_b32_e32 v135, v135, v9                               // 000000003830: 270E1387
	s_waitcnt vmcnt(15)                                        // 000000003834: BF8C0F7F
	v_mfma_f32_16x16x32_fp8_fp8 v[192:195], a[96:97], v[128:129], 0// 000000003838: D3F300C0 0A030160
	v_mfma_f32_16x16x32_fp8_fp8 v[192:195], a[98:99], v[130:131], v[192:195]// 000000003840: D3F300C0 0F030562
	buffer_load_dwordx4 a[80:83], v33, s[20:23], 0 offen offset:1024// 000000003848: E05C1400 80855021
	v_mfma_f32_16x16x32_fp8_fp8 v[192:195], a[100:101], v[132:133], v[192:195]// 000000003850: D3F300C0 0F030964
	v_mfma_f32_16x16x32_fp8_fp8 v[192:195], a[102:103], v[134:135], v[192:195]// 000000003858: D3F300C0 0F030D66
	v_mfma_f32_16x16x32_fp8_fp8 v[192:195], a[104:105], v[136:137], v[192:195]// 000000003860: D3F300C0 0F031168
	v_mfma_f32_16x16x32_fp8_fp8 v[192:195], a[106:107], v[138:139], v[192:195]// 000000003868: D3F300C0 0F03156A
	buffer_load_dwordx4 a[84:87], v34, s[20:23], 0 offen offset:1024// 000000003870: E05C1400 80855422
	v_mfma_f32_16x16x32_fp8_fp8 v[192:195], a[108:109], v[140:141], v[192:195]// 000000003878: D3F300C0 0F03196C
	v_mfma_f32_16x16x32_fp8_fp8 v[192:195], a[110:111], v[142:143], v[192:195]// 000000003880: D3F300C0 0F031D6E
	v_mfma_f32_16x16x32_fp8_fp8 v[196:199], a[112:113], v[128:129], 0// 000000003888: D3F300C4 0A030170
	v_mfma_f32_16x16x32_fp8_fp8 v[196:199], a[114:115], v[130:131], v[196:199]// 000000003890: D3F300C4 0F130572
	buffer_load_dwordx4 a[88:91], v35, s[20:23], 0 offen offset:1024// 000000003898: E05C1400 80855823
	v_mfma_f32_16x16x32_fp8_fp8 v[196:199], a[116:117], v[132:133], v[196:199]// 0000000038A0: D3F300C4 0F130974
	v_mfma_f32_16x16x32_fp8_fp8 v[196:199], a[118:119], v[134:135], v[196:199]// 0000000038A8: D3F300C4 0F130D76
	v_mfma_f32_16x16x32_fp8_fp8 v[196:199], a[120:121], v[136:137], v[196:199]// 0000000038B0: D3F300C4 0F131178
	v_mfma_f32_16x16x32_fp8_fp8 v[196:199], a[122:123], v[138:139], v[196:199]// 0000000038B8: D3F300C4 0F13157A
	buffer_load_dwordx4 a[92:95], v36, s[20:23], 0 offen offset:1024// 0000000038C0: E05C1400 80855C24
	v_mfma_f32_16x16x32_fp8_fp8 v[196:199], a[124:125], v[140:141], v[196:199]// 0000000038C8: D3F300C4 0F13197C
	s_lshr_b32 s57, s70, 4                                     // 0000000038D0: 8F398446
	s_add_u32 s57, 48, s57                                     // 0000000038D4: 803939B0
	v_mfma_f32_16x16x32_fp8_fp8 v[196:199], a[126:127], v[142:143], v[196:199]// 0000000038D8: D3F300C4 0F131D7E
	s_cmp_ge_u32 s57, s73                                      // 0000000038E0: BF094939
	s_cselect_b32 s56, 0, s56                                  // 0000000038E4: 85383880
	v_add_u32_e32 v1, s56, v1                                  // 0000000038E8: 68020238
	s_addk_i32 s70, 0x100                                      // 0000000038EC: B7460100
	s_cmp_lt_i32 s70, s71                                      // 0000000038F0: BF044746
	s_cbranch_scc0 label_05BF                                  // 0000000038F4: BF840001
	s_branch label_020A                                        // 0000000038F8: BF82FC4B

00000000000038fc <label_05BF>:
	s_nop 0                                                    // 0000000038FC: BF800000
	s_nop 0                                                    // 000000003900: BF800000
	s_branch label_0977                                        // 000000003904: BF8203B5

0000000000003908 <label_05C2>:
	s_waitcnt vmcnt(8) lgkmcnt(0)                              // 000000003908: BF8C0078
	v_mul_u32_u24_dpp v41, v20, v68 row_newbcast:0 row_mask:0xf bank_mask:0xf// 00000000390C: 105288FA FF015014
	v_mul_u32_u24_dpp v42, v20, v68 row_newbcast:4 row_mask:0xf bank_mask:0xf// 000000003914: 105488FA FF015414
	v_mul_u32_u24_dpp v43, v20, v68 row_newbcast:8 row_mask:0xf bank_mask:0xf// 00000000391C: 105688FA FF015814
	v_mul_u32_u24_dpp v44, v20, v68 row_newbcast:12 row_mask:0xf bank_mask:0xf// 000000003924: 105888FA FF015C14
	v_add_u32_e32 v29, v41, v6                                 // 00000000392C: 683A0D29
	v_add_u32_e32 v30, v42, v6                                 // 000000003930: 683C0D2A
	v_add_u32_e32 v31, v43, v6                                 // 000000003934: 683E0D2B
	v_add_u32_e32 v32, v44, v6                                 // 000000003938: 68400D2C
	v_mul_u32_u24_dpp v41, v20, v78 quad_perm:[0,0,0,0] row_mask:0xf bank_mask:0xf// 00000000393C: 10529CFA FF000014
	v_add_u32_e32 v3, v41, v74                                 // 000000003944: 68069529
	v_mul_u32_u24_dpp v41, v20, v78 quad_perm:[0,0,0,0] row_mask:0xf bank_mask:0xf// 000000003948: 10529CFA FF000014
	v_add_u32_e32 v71, v41, v75                                // 000000003950: 688E9729
	v_mfma_f32_16x16x32_fp8_fp8 v[128:131], a[0:1], v[96:97], 0// 000000003954: D3F30080 0A02C100
	buffer_load_dwordx4 a[32:35], v29, s[16:19], 0 offen       // 00000000395C: E05C1000 8084201D
	v_mfma_f32_16x16x32_fp8_fp8 v[128:131], a[2:3], v[98:99], v[128:131]// 000000003964: D3F30080 0E02C502
	v_mfma_f32_16x16x32_fp8_fp8 v[128:131], a[4:5], v[100:101], v[128:131]// 00000000396C: D3F30080 0E02C904
	buffer_load_dword v19, v1, s[24:27], 0 offen               // 000000003974: E0501000 80061301
	v_mfma_f32_16x16x32_fp8_fp8 v[128:131], a[6:7], v[102:103], v[128:131]// 00000000397C: D3F30080 0E02CD06
	v_mfma_f32_16x16x32_fp8_fp8 v[132:135], a[8:9], v[96:97], 0// 000000003984: D3F30084 0A02C108
	buffer_load_dwordx4 a[36:39], v29, s[16:19], 0 offen offset:1024// 00000000398C: E05C1400 8084241D
	v_mfma_f32_16x16x32_fp8_fp8 v[132:135], a[10:11], v[98:99], v[132:135]// 000000003994: D3F30084 0E12C50A
	v_mfma_f32_16x16x32_fp8_fp8 v[132:135], a[12:13], v[100:101], v[132:135]// 00000000399C: D3F30084 0E12C90C
	v_mfma_f32_16x16x32_fp8_fp8 v[132:135], a[14:15], v[102:103], v[132:135]// 0000000039A4: D3F30084 0E12CD0E
	v_mfma_f32_16x16x32_fp8_fp8 v[136:139], a[16:17], v[96:97], 0// 0000000039AC: D3F30088 0A02C110
	buffer_load_dwordx4 a[40:43], v30, s[16:19], 0 offen       // 0000000039B4: E05C1000 8084281E
	v_mfma_f32_16x16x32_fp8_fp8 v[136:139], a[18:19], v[98:99], v[136:139]// 0000000039BC: D3F30088 0E22C512
	v_mfma_f32_16x16x32_fp8_fp8 v[136:139], a[20:21], v[100:101], v[136:139]// 0000000039C4: D3F30088 0E22C914
	v_mfma_f32_16x16x32_fp8_fp8 v[136:139], a[22:23], v[102:103], v[136:139]// 0000000039CC: D3F30088 0E22CD16
	v_mfma_f32_16x16x32_fp8_fp8 v[140:143], a[24:25], v[96:97], 0// 0000000039D4: D3F3008C 0A02C118
	buffer_load_dwordx4 a[44:47], v30, s[16:19], 0 offen offset:1024// 0000000039DC: E05C1400 80842C1E
	v_mfma_f32_16x16x32_fp8_fp8 v[140:143], a[26:27], v[98:99], v[140:143]// 0000000039E4: D3F3008C 0E32C51A
	v_mfma_f32_16x16x32_fp8_fp8 v[140:143], a[28:29], v[100:101], v[140:143]// 0000000039EC: D3F3008C 0E32C91C
	v_mfma_f32_16x16x32_fp8_fp8 v[140:143], a[30:31], v[102:103], v[140:143]// 0000000039F4: D3F3008C 0E32CD1E
	buffer_load_dword v53, v3, s[32:35], 0 offen               // 0000000039FC: E0501000 80083503
	v_mov_b32_dpp v41, v52 row_shr:4 row_mask:0xf bank_mask:0xf// 000000003A04: 7E5202FA FF011434
	v_mov_b32_dpp v42, v52 row_shl:4 row_mask:0xf bank_mask:0xf// 000000003A0C: 7E5402FA FF010434
	v_cndmask_b32_e64 v248, v52, v41, s[44:45]                 // 000000003A14: D10000F8 00B25334
	v_cndmask_b32_e64 v249, v42, v52, s[44:45]                 // 000000003A1C: D10000F9 00B2692A
	v_mov_b32_dpp v41, v72 row_shr:4 row_mask:0xf bank_mask:0xf// 000000003A24: 7E5202FA FF011448
	v_mov_b32_dpp v42, v72 row_shl:4 row_mask:0xf bank_mask:0xf// 000000003A2C: 7E5402FA FF010448
	v_cndmask_b32_e64 v252, v72, v41, s[44:45]                 // 000000003A34: D10000FC 00B25348
	v_cndmask_b32_e64 v253, v42, v72, s[44:45]                 // 000000003A3C: D10000FD 00B2912A
	v_or_b32_dpp v128, v136, v128 row_shr:8 row_mask:0xf bank_mask:0xf bound_ctrl:1// 000000003A44: 290100FA FF091888
	v_or_b32_dpp v129, v137, v129 row_shr:8 row_mask:0xf bank_mask:0xf bound_ctrl:1// 000000003A4C: 290302FA FF091889
	v_or_b32_dpp v130, v138, v130 row_shr:8 row_mask:0xf bank_mask:0xf bound_ctrl:1// 000000003A54: 290504FA FF09188A
	v_or_b32_dpp v131, v139, v131 row_shr:8 row_mask:0xf bank_mask:0xf bound_ctrl:1// 000000003A5C: 290706FA FF09188B
	v_or_b32_dpp v132, v140, v132 row_shr:8 row_mask:0xf bank_mask:0xf bound_ctrl:1// 000000003A64: 290908FA FF09188C
	v_or_b32_dpp v133, v141, v133 row_shr:8 row_mask:0xf bank_mask:0xf bound_ctrl:1// 000000003A6C: 290B0AFA FF09188D
	v_or_b32_dpp v134, v142, v134 row_shr:8 row_mask:0xf bank_mask:0xf bound_ctrl:1// 000000003A74: 290D0CFA FF09188E
	v_or_b32_dpp v135, v143, v135 row_shr:8 row_mask:0xf bank_mask:0xf bound_ctrl:1// 000000003A7C: 290F0EFA FF09188F
	buffer_load_dword v73, v71, s[36:39], 0 offen              // 000000003A84: E0501000 80094947
	v_mul_f32_e32 v128, v54, v128                              // 000000003A8C: 0B010136
	v_mul_f32_e32 v129, v54, v129                              // 000000003A90: 0B030336
	v_mul_f32_e32 v130, v54, v130                              // 000000003A94: 0B050536
	v_mul_f32_e32 v131, v54, v131                              // 000000003A98: 0B070736
	v_mul_f32_e32 v132, v54, v132                              // 000000003A9C: 0B090936
	v_mul_f32_e32 v133, v54, v133                              // 000000003AA0: 0B0B0B36
	v_mul_f32_e32 v134, v54, v134                              // 000000003AA4: 0B0D0D36
	v_mul_f32_e32 v135, v54, v135                              // 000000003AA8: 0B0F0F36
	buffer_load_dwordx4 a[48:51], v31, s[16:19], 0 offen       // 000000003AAC: E05C1000 8084301F
	v_mul_f32_dpp v128, v248, v128 quad_perm:[0,0,0,0] row_mask:0xf bank_mask:0xf// 000000003AB4: 0B0100FA FF0000F8
	v_mul_f32_dpp v129, v248, v129 quad_perm:[1,1,1,1] row_mask:0xf bank_mask:0xf// 000000003ABC: 0B0302FA FF0055F8
	v_mul_f32_dpp v130, v248, v130 quad_perm:[2,2,2,2] row_mask:0xf bank_mask:0xf// 000000003AC4: 0B0504FA FF00AAF8
	v_mul_f32_dpp v131, v248, v131 quad_perm:[3,3,3,3] row_mask:0xf bank_mask:0xf// 000000003ACC: 0B0706FA FF00FFF8
	v_mul_f32_dpp v132, v249, v132 quad_perm:[0,0,0,0] row_mask:0xf bank_mask:0xf// 000000003AD4: 0B0908FA FF0000F9
	v_mul_f32_dpp v133, v249, v133 quad_perm:[1,1,1,1] row_mask:0xf bank_mask:0xf// 000000003ADC: 0B0B0AFA FF0055F9
	v_mul_f32_dpp v134, v249, v134 quad_perm:[2,2,2,2] row_mask:0xf bank_mask:0xf// 000000003AE4: 0B0D0CFA FF00AAF9
	v_mul_f32_dpp v135, v249, v135 quad_perm:[3,3,3,3] row_mask:0xf bank_mask:0xf// 000000003AEC: 0B0F0EFA FF00FFF9
	buffer_load_dwordx4 a[52:55], v31, s[16:19], 0 offen offset:1024// 000000003AF4: E05C1400 8084341F
	v_mov_b32_e32 v62, v128                                    // 000000003AFC: 7E7C0380
	v_max3_f32 v62, v128, v129, v62                            // 000000003B00: D1D3003E 04FB0380
	v_max3_f32 v62, v130, v131, v62                            // 000000003B08: D1D3003E 04FB0782
	v_max3_f32 v62, v132, v133, v62                            // 000000003B10: D1D3003E 04FB0B84
	v_max3_f32 v62, v134, v135, v62                            // 000000003B18: D1D3003E 04FB0F86
	ds_write_b32 v11, v62 offset:16896                         // 000000003B20: D81A4200 00003E0B
	buffer_load_dwordx4 a[56:59], v32, s[16:19], 0 offen       // 000000003B28: E05C1000 80843820
	v_mul_u32_u24_dpp v41, v20, v68 row_newbcast:1 row_mask:0xf bank_mask:0xf// 000000003B30: 105288FA FF015114
	v_mul_u32_u24_dpp v42, v20, v68 row_newbcast:5 row_mask:0xf bank_mask:0xf// 000000003B38: 105488FA FF015514
	v_mul_u32_u24_dpp v43, v20, v68 row_newbcast:9 row_mask:0xf bank_mask:0xf// 000000003B40: 105688FA FF015914
	v_mul_u32_u24_dpp v44, v20, v68 row_newbcast:13 row_mask:0xf bank_mask:0xf// 000000003B48: 105888FA FF015D14
	v_add_u32_e32 v37, v41, v7                                 // 000000003B50: 684A0F29
	v_add_u32_e32 v38, v42, v7                                 // 000000003B54: 684C0F2A
	v_add_u32_e32 v39, v43, v7                                 // 000000003B58: 684E0F2B
	v_add_u32_e32 v40, v44, v7                                 // 000000003B5C: 68500F2C
	s_waitcnt lgkmcnt(0)                                       // 000000003B60: BF8CC07F
	s_barrier                                                  // 000000003B64: BF8A0000
	ds_read_b32 v80, v10 offset:16896                          // 000000003B68: D86C4200 5000000A
	ds_read_b32 v81, v10 offset:16960                          // 000000003B70: D86C4240 5100000A
	ds_read_b32 v82, v10 offset:17024                          // 000000003B78: D86C4280 5200000A
	ds_read_b32 v83, v10 offset:17088                          // 000000003B80: D86C42C0 5300000A
	ds_read_b32 v84, v10 offset:17152                          // 000000003B88: D86C4300 5400000A
	ds_read_b32 v85, v10 offset:17216                          // 000000003B90: D86C4340 5500000A
	ds_read_b32 v86, v10 offset:17280                          // 000000003B98: D86C4380 5600000A
	ds_read_b32 v87, v10 offset:17344                          // 000000003BA0: D86C43C0 5700000A
	ds_read_b32 v88, v10 offset:17408                          // 000000003BA8: D86C4400 5800000A
	ds_read_b32 v89, v10 offset:17472                          // 000000003BB0: D86C4440 5900000A
	ds_read_b32 v90, v10 offset:17536                          // 000000003BB8: D86C4480 5A00000A
	ds_read_b32 v91, v10 offset:17600                          // 000000003BC0: D86C44C0 5B00000A
	ds_read_b32 v92, v10 offset:17664                          // 000000003BC8: D86C4500 5C00000A
	ds_read_b32 v93, v10 offset:17728                          // 000000003BD0: D86C4540 5D00000A
	ds_read_b32 v94, v10 offset:17792                          // 000000003BD8: D86C4580 5E00000A
	ds_read_b32 v95, v10 offset:17856                          // 000000003BE0: D86C45C0 5F00000A
	buffer_load_dwordx4 a[60:63], v32, s[16:19], 0 offen offset:1024// 000000003BE8: E05C1400 80843C20
	v_mul_f32_e32 v224, v63, v224                              // 000000003BF0: 0BC1C13F
	v_mul_f32_e32 v225, v63, v225                              // 000000003BF4: 0BC3C33F
	v_mul_f32_e32 v226, v63, v226                              // 000000003BF8: 0BC5C53F
	v_mul_f32_e32 v227, v63, v227                              // 000000003BFC: 0BC7C73F
	v_or_b32_dpp v192, v196, v192 row_shr:8 row_mask:0xf bank_mask:0xf bound_ctrl:1// 000000003C00: 298180FA FF0918C4
	v_or_b32_dpp v193, v197, v193 row_shr:8 row_mask:0xf bank_mask:0xf bound_ctrl:1// 000000003C08: 298382FA FF0918C5
	v_or_b32_dpp v194, v198, v194 row_shr:8 row_mask:0xf bank_mask:0xf bound_ctrl:1// 000000003C10: 298584FA FF0918C6
	v_or_b32_dpp v195, v199, v195 row_shr:8 row_mask:0xf bank_mask:0xf bound_ctrl:1// 000000003C18: 298786FA FF0918C7
	s_waitcnt lgkmcnt(0)                                       // 000000003C20: BF8CC07F
	v_max3_f32 v62, v80, v81, v62                              // 000000003C24: D1D3003E 04FAA350
	v_max3_f32 v62, v82, v83, v62                              // 000000003C2C: D1D3003E 04FAA752
	v_max3_f32 v62, v84, v85, v62                              // 000000003C34: D1D3003E 04FAAB54
	v_max3_f32 v62, v86, v87, v62                              // 000000003C3C: D1D3003E 04FAAF56
	v_max3_f32 v62, v88, v89, v62                              // 000000003C44: D1D3003E 04FAB358
	v_max3_f32 v62, v90, v91, v62                              // 000000003C4C: D1D3003E 04FAB75A
	v_max3_f32 v62, v92, v93, v62                              // 000000003C54: D1D3003E 04FABB5C
	v_max3_f32 v62, v94, v95, v62                              // 000000003C5C: D1D3003E 04FABF5E
	buffer_load_dwordx4 a[96:99], v37, s[20:23], 0 offen       // 000000003C64: E05C1000 80856025
	v_cmp_eq_u32_e64 s[40:41], v69, v14                        // 000000003C6C: D0CA0028 00021D45
	s_nop 1                                                    // 000000003C74: BF800001
	v_mov_b32_dpp v41, v62 row_ror:8 row_mask:0xf bank_mask:0xf// 000000003C78: 7E5202FA FF01283E
	v_max_f32_e32 v62, v62, v41                                // 000000003C80: 167C533E
	v_max_f32_e32 v18, v62, v14                                // 000000003C84: 16241D3E
	v_mul_f32_e32 v67, s64, v18                                // 000000003C88: 0A862440
	v_fma_f32 v128, v128, s64, -v67                            // 000000003C8C: D1CB0080 850C8180
	v_fma_f32 v129, v129, s64, -v67                            // 000000003C94: D1CB0081 850C8181
	v_fma_f32 v130, v130, s64, -v67                            // 000000003C9C: D1CB0082 850C8182
	v_fma_f32 v131, v131, s64, -v67                            // 000000003CA4: D1CB0083 850C8183
	v_fma_f32 v132, v132, s64, -v67                            // 000000003CAC: D1CB0084 850C8184
	v_fma_f32 v133, v133, s64, -v67                            // 000000003CB4: D1CB0085 850C8185
	v_fma_f32 v134, v134, s64, -v67                            // 000000003CBC: D1CB0086 850C8186
	v_fma_f32 v135, v135, s64, -v67                            // 000000003CC4: D1CB0087 850C8187
	buffer_load_dwordx4 a[100:103], v38, s[20:23], 0 offen     // 000000003CCC: E05C1000 80856426
	v_exp_f32_e32 v128, v128                                   // 000000003CD4: 7F004180
	v_exp_f32_e32 v129, v129                                   // 000000003CD8: 7F024181
	v_exp_f32_e32 v130, v130                                   // 000000003CDC: 7F044182
	v_exp_f32_e32 v131, v131                                   // 000000003CE0: 7F064183
	v_exp_f32_e32 v132, v132                                   // 000000003CE4: 7F084184
	v_exp_f32_e32 v133, v133                                   // 000000003CE8: 7F0A4185
	v_exp_f32_e32 v134, v134                                   // 000000003CEC: 7F0C4186
	v_exp_f32_e32 v135, v135                                   // 000000003CF0: 7F0E4187
	buffer_load_dwordx4 a[104:107], v39, s[20:23], 0 offen     // 000000003CF4: E05C1000 80856827
	v_mul_f32_dpp v240, v252, v128 quad_perm:[0,0,0,0] row_mask:0xf bank_mask:0xf// 000000003CFC: 0BE100FA FF0000FC
	v_mul_f32_dpp v241, v252, v129 quad_perm:[1,1,1,1] row_mask:0xf bank_mask:0xf// 000000003D04: 0BE302FA FF0055FC
	v_mul_f32_dpp v242, v252, v130 quad_perm:[2,2,2,2] row_mask:0xf bank_mask:0xf// 000000003D0C: 0BE504FA FF00AAFC
	v_mul_f32_dpp v243, v252, v131 quad_perm:[3,3,3,3] row_mask:0xf bank_mask:0xf// 000000003D14: 0BE706FA FF00FFFC
	v_mul_f32_dpp v244, v253, v132 quad_perm:[0,0,0,0] row_mask:0xf bank_mask:0xf// 000000003D1C: 0BE908FA FF0000FD
	v_mul_f32_dpp v245, v253, v133 quad_perm:[1,1,1,1] row_mask:0xf bank_mask:0xf// 000000003D24: 0BEB0AFA FF0055FD
	v_mul_f32_dpp v246, v253, v134 quad_perm:[2,2,2,2] row_mask:0xf bank_mask:0xf// 000000003D2C: 0BED0CFA FF00AAFD
	v_mul_f32_dpp v247, v253, v135 quad_perm:[3,3,3,3] row_mask:0xf bank_mask:0xf// 000000003D34: 0BEF0EFA FF00FFFD
	v_mov_b32_e32 v62, 0x358637bd                              // 000000003D3C: 7E7C02FF 358637BD
	v_max3_f32 v62, |v240|, |v241|, v62                        // 000000003D44: D1D3033E 04FBE3F0
	v_max3_f32 v62, |v242|, |v243|, v62                        // 000000003D4C: D1D3033E 04FBE7F2
	v_max3_f32 v62, |v244|, |v245|, v62                        // 000000003D54: D1D3033E 04FBEBF4
	v_max3_f32 v62, |v246|, |v247|, v62                        // 000000003D5C: D1D3033E 04FBEFF6
	buffer_load_dwordx4 a[108:111], v40, s[20:23], 0 offen     // 000000003D64: E05C1000 80856C28
	ds_write_b32 v11, v62 offset:20992                         // 000000003D6C: D81A5200 00003E0B
	v_sub_f32_e32 v63, v14, v18                                // 000000003D74: 047E250E
	v_cndmask_b32_e64 v63, v63, 0, s[40:41]                    // 000000003D78: D100003F 00A1013F
	v_mov_b32_e32 v14, v18                                     // 000000003D80: 7E1C0312
	v_mul_f32_e32 v63, s64, v63                                // 000000003D84: 0A7E7E40
	v_exp_f32_e32 v63, v63                                     // 000000003D88: 7E7E413F
	s_waitcnt lgkmcnt(0)                                       // 000000003D8C: BF8CC07F
	s_barrier                                                  // 000000003D90: BF8A0000
	ds_read_b32 v80, v10 offset:20992                          // 000000003D94: D86C5200 5000000A
	ds_read_b32 v81, v10 offset:21056                          // 000000003D9C: D86C5240 5100000A
	ds_read_b32 v82, v10 offset:21120                          // 000000003DA4: D86C5280 5200000A
	ds_read_b32 v83, v10 offset:21184                          // 000000003DAC: D86C52C0 5300000A
	ds_read_b32 v84, v10 offset:21248                          // 000000003DB4: D86C5300 5400000A
	ds_read_b32 v85, v10 offset:21312                          // 000000003DBC: D86C5340 5500000A
	ds_read_b32 v86, v10 offset:21376                          // 000000003DC4: D86C5380 5600000A
	ds_read_b32 v87, v10 offset:21440                          // 000000003DCC: D86C53C0 5700000A
	ds_read_b32 v88, v10 offset:21504                          // 000000003DD4: D86C5400 5800000A
	ds_read_b32 v89, v10 offset:21568                          // 000000003DDC: D86C5440 5900000A
	ds_read_b32 v90, v10 offset:21632                          // 000000003DE4: D86C5480 5A00000A
	ds_read_b32 v91, v10 offset:21696                          // 000000003DEC: D86C54C0 5B00000A
	ds_read_b32 v92, v10 offset:21760                          // 000000003DF4: D86C5500 5C00000A
	ds_read_b32 v93, v10 offset:21824                          // 000000003DFC: D86C5540 5D00000A
	ds_read_b32 v94, v10 offset:21888                          // 000000003E04: D86C5580 5E00000A
	ds_read_b32 v95, v10 offset:21952                          // 000000003E0C: D86C55C0 5F00000A
	v_mul_f32_e32 v47, v63, v47                                // 000000003E14: 0A5E5F3F
	v_mov_b32_e32 v51, v128                                    // 000000003E18: 7E660380
	v_add_f32_e32 v51, v129, v51                               // 000000003E1C: 02666781
	v_add_f32_e32 v51, v130, v51                               // 000000003E20: 02666782
	v_add_f32_e32 v51, v131, v51                               // 000000003E24: 02666783
	v_add_f32_e32 v51, v132, v51                               // 000000003E28: 02666784
	v_add_f32_e32 v51, v133, v51                               // 000000003E2C: 02666785
	v_add_f32_e32 v51, v134, v51                               // 000000003E30: 02666786
	v_add_f32_e32 v51, v135, v51                               // 000000003E34: 02666787
	v_add_f32_e32 v47, v51, v47                                // 000000003E38: 025E5F33
	s_waitcnt lgkmcnt(0)                                       // 000000003E3C: BF8CC07F
	v_max3_f32 v62, |v80|, |v81|, v62                          // 000000003E40: D1D3033E 04FAA350
	v_max3_f32 v62, |v82|, |v83|, v62                          // 000000003E48: D1D3033E 04FAA752
	v_max3_f32 v62, |v84|, |v85|, v62                          // 000000003E50: D1D3033E 04FAAB54
	v_max3_f32 v62, |v86|, |v87|, v62                          // 000000003E58: D1D3033E 04FAAF56
	v_max3_f32 v62, |v88|, |v89|, v62                          // 000000003E60: D1D3033E 04FAB358
	v_max3_f32 v62, |v90|, |v91|, v62                          // 000000003E68: D1D3033E 04FAB75A
	v_max3_f32 v62, |v92|, |v93|, v62                          // 000000003E70: D1D3033E 04FABB5C
	v_max3_f32 v62, |v94|, |v95|, v62                          // 000000003E78: D1D3033E 04FABF5E
	s_nop 2                                                    // 000000003E80: BF800002
	v_mov_b32_dpp v41, v62 row_ror:8 row_mask:0xf bank_mask:0xf// 000000003E84: 7E5202FA FF01283E
	v_max_f32_e32 v62, v62, v41                                // 000000003E8C: 167C533E
	v_rcp_f32_e32 v62, v62                                     // 000000003E90: 7E7C453E
	s_nop 1                                                    // 000000003E94: BF800001
	v_mul_f32_e32 v62, 0x43700000, v62                         // 000000003E98: 0A7C7CFF 43700000
	v_mul_f32_e32 v128, v62, v240                              // 000000003EA0: 0B01E13E
	v_mul_f32_e32 v129, v62, v241                              // 000000003EA4: 0B03E33E
	v_mul_f32_e32 v130, v62, v242                              // 000000003EA8: 0B05E53E
	v_mul_f32_e32 v131, v62, v243                              // 000000003EAC: 0B07E73E
	v_mul_f32_e32 v132, v62, v244                              // 000000003EB0: 0B09E93E
	v_mul_f32_e32 v133, v62, v245                              // 000000003EB4: 0B0BEB3E
	v_mul_f32_e32 v134, v62, v246                              // 000000003EB8: 0B0DED3E
	v_mul_f32_e32 v135, v62, v247                              // 000000003EBC: 0B0FEF3E
	v_cvt_pk_fp8_f32 v128, v128, v129                          // 000000003EC0: D2A20080 00030380
	v_cvt_pk_fp8_f32 v128, v130, v131 op_sel:[0,0,1]           // 000000003EC8: D2A24080 00030782
	v_cvt_pk_fp8_f32 v129, v132, v133                          // 000000003ED0: D2A20081 00030B84
	v_cvt_pk_fp8_f32 v129, v134, v135 op_sel:[0,0,1]           // 000000003ED8: D2A24081 00030F86
	ds_write_b32 v13, v128 offset:25088                        // 000000003EE0: D81A6200 0000800D
	ds_write_b32 v13, v129 offset:26112                        // 000000003EE8: D81A6600 0000810D
	v_mul_f32_e32 v192, v58, v192                              // 000000003EF0: 0B81813A
	v_mul_f32_e32 v193, v58, v193                              // 000000003EF4: 0B83833A
	v_mul_f32_e32 v194, v58, v194                              // 000000003EF8: 0B85853A
	v_mul_f32_e32 v195, v58, v195                              // 000000003EFC: 0B87873A
	v_rcp_f32_e32 v58, v62                                     // 000000003F00: 7E74453E
	s_waitcnt lgkmcnt(0)                                       // 000000003F04: BF8CC07F
	s_barrier                                                  // 000000003F08: BF8A0000
	ds_read_b64 v[128:129], v12 offset:25088                   // 000000003F0C: D8EC6200 8000000C
	ds_read_b64 v[130:131], v12 offset:25216                   // 000000003F14: D8EC6280 8200000C
	ds_read_b64 v[132:133], v12 offset:26112                   // 000000003F1C: D8EC6600 8400000C
	ds_read_b64 v[134:135], v12 offset:26240                   // 000000003F24: D8EC6680 8600000C
	v_add_f32_e32 v224, v224, v192                             // 000000003F2C: 03C181E0
	v_add_f32_e32 v225, v225, v193                             // 000000003F30: 03C383E1
	v_add_f32_e32 v226, v226, v194                             // 000000003F34: 03C585E2
	v_add_f32_e32 v227, v227, v195                             // 000000003F38: 03C787E3
	s_waitcnt lgkmcnt(3)                                       // 000000003F3C: BF8CC37F
	v_mov_b32_dpp v136, v128 row_shl:8 row_mask:0xf bank_mask:0xf bound_ctrl:1// 000000003F40: 7F1002FA FF090880
	v_and_b32_e32 v128, v128, v9                               // 000000003F48: 27001380
	v_mov_b32_dpp v137, v129 row_shl:8 row_mask:0xf bank_mask:0xf bound_ctrl:1// 000000003F4C: 7F1202FA FF090881
	v_and_b32_e32 v129, v129, v9                               // 000000003F54: 27021381
	s_waitcnt lgkmcnt(2)                                       // 000000003F58: BF8CC27F
	v_mov_b32_dpp v138, v130 row_shl:8 row_mask:0xf bank_mask:0xf bound_ctrl:1// 000000003F5C: 7F1402FA FF090882
	v_and_b32_e32 v130, v130, v9                               // 000000003F64: 27041382
	v_mov_b32_dpp v139, v131 row_shl:8 row_mask:0xf bank_mask:0xf bound_ctrl:1// 000000003F68: 7F1602FA FF090883
	v_and_b32_e32 v131, v131, v9                               // 000000003F70: 27061383
	s_waitcnt lgkmcnt(1)                                       // 000000003F74: BF8CC17F
	v_mov_b32_dpp v140, v132 row_shl:8 row_mask:0xf bank_mask:0xf bound_ctrl:1// 000000003F78: 7F1802FA FF090884
	v_and_b32_e32 v132, v132, v9                               // 000000003F80: 27081384
	v_mov_b32_dpp v141, v133 row_shl:8 row_mask:0xf bank_mask:0xf bound_ctrl:1// 000000003F84: 7F1A02FA FF090885
	v_and_b32_e32 v133, v133, v9                               // 000000003F8C: 270A1385
	s_waitcnt lgkmcnt(0)                                       // 000000003F90: BF8CC07F
	v_mov_b32_dpp v142, v134 row_shl:8 row_mask:0xf bank_mask:0xf bound_ctrl:1// 000000003F94: 7F1C02FA FF090886
	v_and_b32_e32 v134, v134, v9                               // 000000003F9C: 270C1386
	v_mov_b32_dpp v143, v135 row_shl:8 row_mask:0xf bank_mask:0xf bound_ctrl:1// 000000003FA0: 7F1E02FA FF090887
	v_and_b32_e32 v135, v135, v9                               // 000000003FA8: 270E1387
	s_waitcnt vmcnt(15)                                        // 000000003FAC: BF8C0F7F
	v_mfma_f32_16x16x32_fp8_fp8 v[192:195], a[64:65], v[128:129], 0// 000000003FB0: D3F300C0 0A030140
	buffer_load_dwordx4 a[112:115], v37, s[20:23], 0 offen offset:1024// 000000003FB8: E05C1400 80857025
	v_mfma_f32_16x16x32_fp8_fp8 v[192:195], a[66:67], v[130:131], v[192:195]// 000000003FC0: D3F300C0 0F030542
	v_mfma_f32_16x16x32_fp8_fp8 v[192:195], a[68:69], v[132:133], v[192:195]// 000000003FC8: D3F300C0 0F030944
	v_mfma_f32_16x16x32_fp8_fp8 v[192:195], a[70:71], v[134:135], v[192:195]// 000000003FD0: D3F300C0 0F030D46
	v_mfma_f32_16x16x32_fp8_fp8 v[192:195], a[72:73], v[136:137], v[192:195]// 000000003FD8: D3F300C0 0F031148
	buffer_load_dwordx4 a[116:119], v38, s[20:23], 0 offen offset:1024// 000000003FE0: E05C1400 80857426
	v_mfma_f32_16x16x32_fp8_fp8 v[192:195], a[74:75], v[138:139], v[192:195]// 000000003FE8: D3F300C0 0F03154A
	v_mfma_f32_16x16x32_fp8_fp8 v[192:195], a[76:77], v[140:141], v[192:195]// 000000003FF0: D3F300C0 0F03194C
	v_mfma_f32_16x16x32_fp8_fp8 v[192:195], a[78:79], v[142:143], v[192:195]// 000000003FF8: D3F300C0 0F031D4E
	v_mfma_f32_16x16x32_fp8_fp8 v[196:199], a[80:81], v[128:129], 0// 000000004000: D3F300C4 0A030150
	buffer_load_dwordx4 a[120:123], v39, s[20:23], 0 offen offset:1024// 000000004008: E05C1400 80857827
	v_mfma_f32_16x16x32_fp8_fp8 v[196:199], a[82:83], v[130:131], v[196:199]// 000000004010: D3F300C4 0F130552
	v_mfma_f32_16x16x32_fp8_fp8 v[196:199], a[84:85], v[132:133], v[196:199]// 000000004018: D3F300C4 0F130954
	v_mfma_f32_16x16x32_fp8_fp8 v[196:199], a[86:87], v[134:135], v[196:199]// 000000004020: D3F300C4 0F130D56
	v_mfma_f32_16x16x32_fp8_fp8 v[196:199], a[88:89], v[136:137], v[196:199]// 000000004028: D3F300C4 0F131158
	buffer_load_dwordx4 a[124:127], v40, s[20:23], 0 offen offset:1024// 000000004030: E05C1400 80857C28
	v_mfma_f32_16x16x32_fp8_fp8 v[196:199], a[90:91], v[138:139], v[196:199]// 000000004038: D3F300C4 0F13155A
	v_mfma_f32_16x16x32_fp8_fp8 v[196:199], a[92:93], v[140:141], v[196:199]// 000000004040: D3F300C4 0F13195C
	s_lshr_b32 s57, s70, 4                                     // 000000004048: 8F398446
	s_add_u32 s57, 48, s57                                     // 00000000404C: 803939B0
	v_mfma_f32_16x16x32_fp8_fp8 v[196:199], a[94:95], v[142:143], v[196:199]// 000000004050: D3F300C4 0F131D5E
	s_cmp_ge_u32 s57, s73                                      // 000000004058: BF094939
	s_cselect_b32 s56, 0, s56                                  // 00000000405C: 85383880
	v_add_u32_e32 v1, s56, v1                                  // 000000004060: 68020238
	s_addk_i32 s70, 0x100                                      // 000000004064: B7460100
	s_cmp_lt_i32 s70, s71                                      // 000000004068: BF044746
	s_cbranch_scc0 label_05BF                                  // 00000000406C: BF84FE23
	s_waitcnt vmcnt(8) lgkmcnt(0)                              // 000000004070: BF8C0078
	v_mul_u32_u24_dpp v41, v19, v68 row_newbcast:0 row_mask:0xf bank_mask:0xf// 000000004074: 105288FA FF015013
	v_mul_u32_u24_dpp v42, v19, v68 row_newbcast:4 row_mask:0xf bank_mask:0xf// 00000000407C: 105488FA FF015413
	v_mul_u32_u24_dpp v43, v19, v68 row_newbcast:8 row_mask:0xf bank_mask:0xf// 000000004084: 105688FA FF015813
	v_mul_u32_u24_dpp v44, v19, v68 row_newbcast:12 row_mask:0xf bank_mask:0xf// 00000000408C: 105888FA FF015C13
	v_add_u32_e32 v25, v41, v6                                 // 000000004094: 68320D29
	v_add_u32_e32 v26, v42, v6                                 // 000000004098: 68340D2A
	v_add_u32_e32 v27, v43, v6                                 // 00000000409C: 68360D2B
	v_add_u32_e32 v28, v44, v6                                 // 0000000040A0: 68380D2C
	v_mul_u32_u24_dpp v41, v19, v78 quad_perm:[0,0,0,0] row_mask:0xf bank_mask:0xf// 0000000040A4: 10529CFA FF000013
	v_add_u32_e32 v2, v41, v74                                 // 0000000040AC: 68049529
	v_mul_u32_u24_dpp v41, v19, v78 quad_perm:[0,0,0,0] row_mask:0xf bank_mask:0xf// 0000000040B0: 10529CFA FF000013
	v_add_u32_e32 v70, v41, v75                                // 0000000040B8: 688C9729
	v_mfma_f32_16x16x32_fp8_fp8 v[128:131], a[32:33], v[96:97], 0// 0000000040BC: D3F30080 0A02C120
	buffer_load_dwordx4 a[0:3], v25, s[16:19], 0 offen         // 0000000040C4: E05C1000 80840019
	v_mfma_f32_16x16x32_fp8_fp8 v[128:131], a[34:35], v[98:99], v[128:131]// 0000000040CC: D3F30080 0E02C522
	v_mfma_f32_16x16x32_fp8_fp8 v[128:131], a[36:37], v[100:101], v[128:131]// 0000000040D4: D3F30080 0E02C924
	buffer_load_dword v20, v1, s[24:27], 0 offen               // 0000000040DC: E0501000 80061401
	v_mfma_f32_16x16x32_fp8_fp8 v[128:131], a[38:39], v[102:103], v[128:131]// 0000000040E4: D3F30080 0E02CD26
	v_mfma_f32_16x16x32_fp8_fp8 v[132:135], a[40:41], v[96:97], 0// 0000000040EC: D3F30084 0A02C128
	buffer_load_dwordx4 a[4:7], v25, s[16:19], 0 offen offset:1024// 0000000040F4: E05C1400 80840419
	v_mfma_f32_16x16x32_fp8_fp8 v[132:135], a[42:43], v[98:99], v[132:135]// 0000000040FC: D3F30084 0E12C52A
	v_mfma_f32_16x16x32_fp8_fp8 v[132:135], a[44:45], v[100:101], v[132:135]// 000000004104: D3F30084 0E12C92C
	v_mfma_f32_16x16x32_fp8_fp8 v[132:135], a[46:47], v[102:103], v[132:135]// 00000000410C: D3F30084 0E12CD2E
	v_mfma_f32_16x16x32_fp8_fp8 v[136:139], a[48:49], v[96:97], 0// 000000004114: D3F30088 0A02C130
	buffer_load_dwordx4 a[8:11], v26, s[16:19], 0 offen        // 00000000411C: E05C1000 8084081A
	v_mfma_f32_16x16x32_fp8_fp8 v[136:139], a[50:51], v[98:99], v[136:139]// 000000004124: D3F30088 0E22C532
	v_mfma_f32_16x16x32_fp8_fp8 v[136:139], a[52:53], v[100:101], v[136:139]// 00000000412C: D3F30088 0E22C934
	v_mfma_f32_16x16x32_fp8_fp8 v[136:139], a[54:55], v[102:103], v[136:139]// 000000004134: D3F30088 0E22CD36
	v_mfma_f32_16x16x32_fp8_fp8 v[140:143], a[56:57], v[96:97], 0// 00000000413C: D3F3008C 0A02C138
	buffer_load_dwordx4 a[12:15], v26, s[16:19], 0 offen offset:1024// 000000004144: E05C1400 80840C1A
	v_mfma_f32_16x16x32_fp8_fp8 v[140:143], a[58:59], v[98:99], v[140:143]// 00000000414C: D3F3008C 0E32C53A
	v_mfma_f32_16x16x32_fp8_fp8 v[140:143], a[60:61], v[100:101], v[140:143]// 000000004154: D3F3008C 0E32C93C
	v_mfma_f32_16x16x32_fp8_fp8 v[140:143], a[62:63], v[102:103], v[140:143]// 00000000415C: D3F3008C 0E32CD3E
	buffer_load_dword v52, v2, s[32:35], 0 offen               // 000000004164: E0501000 80083402
	v_mov_b32_dpp v41, v53 row_shr:4 row_mask:0xf bank_mask:0xf// 00000000416C: 7E5202FA FF011435
	v_mov_b32_dpp v42, v53 row_shl:4 row_mask:0xf bank_mask:0xf// 000000004174: 7E5402FA FF010435
	v_cndmask_b32_e64 v248, v53, v41, s[44:45]                 // 00000000417C: D10000F8 00B25335
	v_cndmask_b32_e64 v249, v42, v53, s[44:45]                 // 000000004184: D10000F9 00B26B2A
	v_mov_b32_dpp v41, v73 row_shr:4 row_mask:0xf bank_mask:0xf// 00000000418C: 7E5202FA FF011449
	v_mov_b32_dpp v42, v73 row_shl:4 row_mask:0xf bank_mask:0xf// 000000004194: 7E5402FA FF010449
	v_cndmask_b32_e64 v252, v73, v41, s[44:45]                 // 00000000419C: D10000FC 00B25349
	v_cndmask_b32_e64 v253, v42, v73, s[44:45]                 // 0000000041A4: D10000FD 00B2932A
	v_or_b32_dpp v128, v136, v128 row_shr:8 row_mask:0xf bank_mask:0xf bound_ctrl:1// 0000000041AC: 290100FA FF091888
	v_or_b32_dpp v129, v137, v129 row_shr:8 row_mask:0xf bank_mask:0xf bound_ctrl:1// 0000000041B4: 290302FA FF091889
	v_or_b32_dpp v130, v138, v130 row_shr:8 row_mask:0xf bank_mask:0xf bound_ctrl:1// 0000000041BC: 290504FA FF09188A
	v_or_b32_dpp v131, v139, v131 row_shr:8 row_mask:0xf bank_mask:0xf bound_ctrl:1// 0000000041C4: 290706FA FF09188B
	v_or_b32_dpp v132, v140, v132 row_shr:8 row_mask:0xf bank_mask:0xf bound_ctrl:1// 0000000041CC: 290908FA FF09188C
	v_or_b32_dpp v133, v141, v133 row_shr:8 row_mask:0xf bank_mask:0xf bound_ctrl:1// 0000000041D4: 290B0AFA FF09188D
	v_or_b32_dpp v134, v142, v134 row_shr:8 row_mask:0xf bank_mask:0xf bound_ctrl:1// 0000000041DC: 290D0CFA FF09188E
	v_or_b32_dpp v135, v143, v135 row_shr:8 row_mask:0xf bank_mask:0xf bound_ctrl:1// 0000000041E4: 290F0EFA FF09188F
	buffer_load_dword v72, v70, s[36:39], 0 offen              // 0000000041EC: E0501000 80094846
	v_mul_f32_e32 v128, v54, v128                              // 0000000041F4: 0B010136
	v_mul_f32_e32 v129, v54, v129                              // 0000000041F8: 0B030336
	v_mul_f32_e32 v130, v54, v130                              // 0000000041FC: 0B050536
	v_mul_f32_e32 v131, v54, v131                              // 000000004200: 0B070736
	v_mul_f32_e32 v132, v54, v132                              // 000000004204: 0B090936
	v_mul_f32_e32 v133, v54, v133                              // 000000004208: 0B0B0B36
	v_mul_f32_e32 v134, v54, v134                              // 00000000420C: 0B0D0D36
	v_mul_f32_e32 v135, v54, v135                              // 000000004210: 0B0F0F36
	buffer_load_dwordx4 a[16:19], v27, s[16:19], 0 offen       // 000000004214: E05C1000 8084101B
	v_mul_f32_dpp v128, v248, v128 quad_perm:[0,0,0,0] row_mask:0xf bank_mask:0xf// 00000000421C: 0B0100FA FF0000F8
	v_mul_f32_dpp v129, v248, v129 quad_perm:[1,1,1,1] row_mask:0xf bank_mask:0xf// 000000004224: 0B0302FA FF0055F8
	v_mul_f32_dpp v130, v248, v130 quad_perm:[2,2,2,2] row_mask:0xf bank_mask:0xf// 00000000422C: 0B0504FA FF00AAF8
	v_mul_f32_dpp v131, v248, v131 quad_perm:[3,3,3,3] row_mask:0xf bank_mask:0xf// 000000004234: 0B0706FA FF00FFF8
	v_mul_f32_dpp v132, v249, v132 quad_perm:[0,0,0,0] row_mask:0xf bank_mask:0xf// 00000000423C: 0B0908FA FF0000F9
	v_mul_f32_dpp v133, v249, v133 quad_perm:[1,1,1,1] row_mask:0xf bank_mask:0xf// 000000004244: 0B0B0AFA FF0055F9
	v_mul_f32_dpp v134, v249, v134 quad_perm:[2,2,2,2] row_mask:0xf bank_mask:0xf// 00000000424C: 0B0D0CFA FF00AAF9
	v_mul_f32_dpp v135, v249, v135 quad_perm:[3,3,3,3] row_mask:0xf bank_mask:0xf// 000000004254: 0B0F0EFA FF00FFF9
	buffer_load_dwordx4 a[20:23], v27, s[16:19], 0 offen offset:1024// 00000000425C: E05C1400 8084141B
	v_mov_b32_e32 v62, v128                                    // 000000004264: 7E7C0380
	v_max3_f32 v62, v128, v129, v62                            // 000000004268: D1D3003E 04FB0380
	v_max3_f32 v62, v130, v131, v62                            // 000000004270: D1D3003E 04FB0782
	v_max3_f32 v62, v132, v133, v62                            // 000000004278: D1D3003E 04FB0B84
	v_max3_f32 v62, v134, v135, v62                            // 000000004280: D1D3003E 04FB0F86
	ds_write_b32 v11, v62 offset:16896                         // 000000004288: D81A4200 00003E0B
	buffer_load_dwordx4 a[24:27], v28, s[16:19], 0 offen       // 000000004290: E05C1000 8084181C
	v_mul_u32_u24_dpp v41, v19, v68 row_newbcast:1 row_mask:0xf bank_mask:0xf// 000000004298: 105288FA FF015113
	v_mul_u32_u24_dpp v42, v19, v68 row_newbcast:5 row_mask:0xf bank_mask:0xf// 0000000042A0: 105488FA FF015513
	v_mul_u32_u24_dpp v43, v19, v68 row_newbcast:9 row_mask:0xf bank_mask:0xf// 0000000042A8: 105688FA FF015913
	v_mul_u32_u24_dpp v44, v19, v68 row_newbcast:13 row_mask:0xf bank_mask:0xf// 0000000042B0: 105888FA FF015D13
	v_add_u32_e32 v33, v41, v7                                 // 0000000042B8: 68420F29
	v_add_u32_e32 v34, v42, v7                                 // 0000000042BC: 68440F2A
	v_add_u32_e32 v35, v43, v7                                 // 0000000042C0: 68460F2B
	v_add_u32_e32 v36, v44, v7                                 // 0000000042C4: 68480F2C
	s_waitcnt lgkmcnt(0)                                       // 0000000042C8: BF8CC07F
	s_barrier                                                  // 0000000042CC: BF8A0000
	ds_read_b32 v80, v10 offset:16896                          // 0000000042D0: D86C4200 5000000A
	ds_read_b32 v81, v10 offset:16960                          // 0000000042D8: D86C4240 5100000A
	ds_read_b32 v82, v10 offset:17024                          // 0000000042E0: D86C4280 5200000A
	ds_read_b32 v83, v10 offset:17088                          // 0000000042E8: D86C42C0 5300000A
	ds_read_b32 v84, v10 offset:17152                          // 0000000042F0: D86C4300 5400000A
	ds_read_b32 v85, v10 offset:17216                          // 0000000042F8: D86C4340 5500000A
	ds_read_b32 v86, v10 offset:17280                          // 000000004300: D86C4380 5600000A
	ds_read_b32 v87, v10 offset:17344                          // 000000004308: D86C43C0 5700000A
	ds_read_b32 v88, v10 offset:17408                          // 000000004310: D86C4400 5800000A
	ds_read_b32 v89, v10 offset:17472                          // 000000004318: D86C4440 5900000A
	ds_read_b32 v90, v10 offset:17536                          // 000000004320: D86C4480 5A00000A
	ds_read_b32 v91, v10 offset:17600                          // 000000004328: D86C44C0 5B00000A
	ds_read_b32 v92, v10 offset:17664                          // 000000004330: D86C4500 5C00000A
	ds_read_b32 v93, v10 offset:17728                          // 000000004338: D86C4540 5D00000A
	ds_read_b32 v94, v10 offset:17792                          // 000000004340: D86C4580 5E00000A
	ds_read_b32 v95, v10 offset:17856                          // 000000004348: D86C45C0 5F00000A
	buffer_load_dwordx4 a[28:31], v28, s[16:19], 0 offen offset:1024// 000000004350: E05C1400 80841C1C
	v_mul_f32_e32 v224, v63, v224                              // 000000004358: 0BC1C13F
	v_mul_f32_e32 v225, v63, v225                              // 00000000435C: 0BC3C33F
	v_mul_f32_e32 v226, v63, v226                              // 000000004360: 0BC5C53F
	v_mul_f32_e32 v227, v63, v227                              // 000000004364: 0BC7C73F
	v_or_b32_dpp v192, v196, v192 row_shr:8 row_mask:0xf bank_mask:0xf bound_ctrl:1// 000000004368: 298180FA FF0918C4
	v_or_b32_dpp v193, v197, v193 row_shr:8 row_mask:0xf bank_mask:0xf bound_ctrl:1// 000000004370: 298382FA FF0918C5
	v_or_b32_dpp v194, v198, v194 row_shr:8 row_mask:0xf bank_mask:0xf bound_ctrl:1// 000000004378: 298584FA FF0918C6
	v_or_b32_dpp v195, v199, v195 row_shr:8 row_mask:0xf bank_mask:0xf bound_ctrl:1// 000000004380: 298786FA FF0918C7
	s_waitcnt lgkmcnt(0)                                       // 000000004388: BF8CC07F
	v_max3_f32 v62, v80, v81, v62                              // 00000000438C: D1D3003E 04FAA350
	v_max3_f32 v62, v82, v83, v62                              // 000000004394: D1D3003E 04FAA752
	v_max3_f32 v62, v84, v85, v62                              // 00000000439C: D1D3003E 04FAAB54
	v_max3_f32 v62, v86, v87, v62                              // 0000000043A4: D1D3003E 04FAAF56
	v_max3_f32 v62, v88, v89, v62                              // 0000000043AC: D1D3003E 04FAB358
	v_max3_f32 v62, v90, v91, v62                              // 0000000043B4: D1D3003E 04FAB75A
	v_max3_f32 v62, v92, v93, v62                              // 0000000043BC: D1D3003E 04FABB5C
	v_max3_f32 v62, v94, v95, v62                              // 0000000043C4: D1D3003E 04FABF5E
	buffer_load_dwordx4 a[64:67], v33, s[20:23], 0 offen       // 0000000043CC: E05C1000 80854021
	v_cmp_eq_u32_e64 s[40:41], v69, v14                        // 0000000043D4: D0CA0028 00021D45
	s_nop 1                                                    // 0000000043DC: BF800001
	v_mov_b32_dpp v41, v62 row_ror:8 row_mask:0xf bank_mask:0xf// 0000000043E0: 7E5202FA FF01283E
	v_max_f32_e32 v62, v62, v41                                // 0000000043E8: 167C533E
	v_max_f32_e32 v18, v62, v14                                // 0000000043EC: 16241D3E
	v_mul_f32_e32 v67, s64, v18                                // 0000000043F0: 0A862440
	v_fma_f32 v128, v128, s64, -v67                            // 0000000043F4: D1CB0080 850C8180
	v_fma_f32 v129, v129, s64, -v67                            // 0000000043FC: D1CB0081 850C8181
	v_fma_f32 v130, v130, s64, -v67                            // 000000004404: D1CB0082 850C8182
	v_fma_f32 v131, v131, s64, -v67                            // 00000000440C: D1CB0083 850C8183
	v_fma_f32 v132, v132, s64, -v67                            // 000000004414: D1CB0084 850C8184
	v_fma_f32 v133, v133, s64, -v67                            // 00000000441C: D1CB0085 850C8185
	v_fma_f32 v134, v134, s64, -v67                            // 000000004424: D1CB0086 850C8186
	v_fma_f32 v135, v135, s64, -v67                            // 00000000442C: D1CB0087 850C8187
	buffer_load_dwordx4 a[68:71], v34, s[20:23], 0 offen       // 000000004434: E05C1000 80854422
	v_exp_f32_e32 v128, v128                                   // 00000000443C: 7F004180
	v_exp_f32_e32 v129, v129                                   // 000000004440: 7F024181
	v_exp_f32_e32 v130, v130                                   // 000000004444: 7F044182
	v_exp_f32_e32 v131, v131                                   // 000000004448: 7F064183
	v_exp_f32_e32 v132, v132                                   // 00000000444C: 7F084184
	v_exp_f32_e32 v133, v133                                   // 000000004450: 7F0A4185
	v_exp_f32_e32 v134, v134                                   // 000000004454: 7F0C4186
	v_exp_f32_e32 v135, v135                                   // 000000004458: 7F0E4187
	buffer_load_dwordx4 a[72:75], v35, s[20:23], 0 offen       // 00000000445C: E05C1000 80854823
	v_mul_f32_dpp v240, v252, v128 quad_perm:[0,0,0,0] row_mask:0xf bank_mask:0xf// 000000004464: 0BE100FA FF0000FC
	v_mul_f32_dpp v241, v252, v129 quad_perm:[1,1,1,1] row_mask:0xf bank_mask:0xf// 00000000446C: 0BE302FA FF0055FC
	v_mul_f32_dpp v242, v252, v130 quad_perm:[2,2,2,2] row_mask:0xf bank_mask:0xf// 000000004474: 0BE504FA FF00AAFC
	v_mul_f32_dpp v243, v252, v131 quad_perm:[3,3,3,3] row_mask:0xf bank_mask:0xf// 00000000447C: 0BE706FA FF00FFFC
	v_mul_f32_dpp v244, v253, v132 quad_perm:[0,0,0,0] row_mask:0xf bank_mask:0xf// 000000004484: 0BE908FA FF0000FD
	v_mul_f32_dpp v245, v253, v133 quad_perm:[1,1,1,1] row_mask:0xf bank_mask:0xf// 00000000448C: 0BEB0AFA FF0055FD
	v_mul_f32_dpp v246, v253, v134 quad_perm:[2,2,2,2] row_mask:0xf bank_mask:0xf// 000000004494: 0BED0CFA FF00AAFD
	v_mul_f32_dpp v247, v253, v135 quad_perm:[3,3,3,3] row_mask:0xf bank_mask:0xf// 00000000449C: 0BEF0EFA FF00FFFD
	v_mov_b32_e32 v62, 0x358637bd                              // 0000000044A4: 7E7C02FF 358637BD
	v_max3_f32 v62, |v240|, |v241|, v62                        // 0000000044AC: D1D3033E 04FBE3F0
	v_max3_f32 v62, |v242|, |v243|, v62                        // 0000000044B4: D1D3033E 04FBE7F2
	v_max3_f32 v62, |v244|, |v245|, v62                        // 0000000044BC: D1D3033E 04FBEBF4
	v_max3_f32 v62, |v246|, |v247|, v62                        // 0000000044C4: D1D3033E 04FBEFF6
	buffer_load_dwordx4 a[76:79], v36, s[20:23], 0 offen       // 0000000044CC: E05C1000 80854C24
	ds_write_b32 v11, v62 offset:20992                         // 0000000044D4: D81A5200 00003E0B
	v_sub_f32_e32 v63, v14, v18                                // 0000000044DC: 047E250E
	v_cndmask_b32_e64 v63, v63, 0, s[40:41]                    // 0000000044E0: D100003F 00A1013F
	v_mov_b32_e32 v14, v18                                     // 0000000044E8: 7E1C0312
	v_mul_f32_e32 v63, s64, v63                                // 0000000044EC: 0A7E7E40
	v_exp_f32_e32 v63, v63                                     // 0000000044F0: 7E7E413F
	s_waitcnt lgkmcnt(0)                                       // 0000000044F4: BF8CC07F
	s_barrier                                                  // 0000000044F8: BF8A0000
	ds_read_b32 v80, v10 offset:20992                          // 0000000044FC: D86C5200 5000000A
	ds_read_b32 v81, v10 offset:21056                          // 000000004504: D86C5240 5100000A
	ds_read_b32 v82, v10 offset:21120                          // 00000000450C: D86C5280 5200000A
	ds_read_b32 v83, v10 offset:21184                          // 000000004514: D86C52C0 5300000A
	ds_read_b32 v84, v10 offset:21248                          // 00000000451C: D86C5300 5400000A
	ds_read_b32 v85, v10 offset:21312                          // 000000004524: D86C5340 5500000A
	ds_read_b32 v86, v10 offset:21376                          // 00000000452C: D86C5380 5600000A
	ds_read_b32 v87, v10 offset:21440                          // 000000004534: D86C53C0 5700000A
	ds_read_b32 v88, v10 offset:21504                          // 00000000453C: D86C5400 5800000A
	ds_read_b32 v89, v10 offset:21568                          // 000000004544: D86C5440 5900000A
	ds_read_b32 v90, v10 offset:21632                          // 00000000454C: D86C5480 5A00000A
	ds_read_b32 v91, v10 offset:21696                          // 000000004554: D86C54C0 5B00000A
	ds_read_b32 v92, v10 offset:21760                          // 00000000455C: D86C5500 5C00000A
	ds_read_b32 v93, v10 offset:21824                          // 000000004564: D86C5540 5D00000A
	ds_read_b32 v94, v10 offset:21888                          // 00000000456C: D86C5580 5E00000A
	ds_read_b32 v95, v10 offset:21952                          // 000000004574: D86C55C0 5F00000A
	v_mul_f32_e32 v47, v63, v47                                // 00000000457C: 0A5E5F3F
	v_mov_b32_e32 v51, v128                                    // 000000004580: 7E660380
	v_add_f32_e32 v51, v129, v51                               // 000000004584: 02666781
	v_add_f32_e32 v51, v130, v51                               // 000000004588: 02666782
	v_add_f32_e32 v51, v131, v51                               // 00000000458C: 02666783
	v_add_f32_e32 v51, v132, v51                               // 000000004590: 02666784
	v_add_f32_e32 v51, v133, v51                               // 000000004594: 02666785
	;; [unrolled: 1-line block ×3, first 2 shown]
	v_add_f32_e32 v51, v135, v51                               // 00000000459C: 02666787
	v_add_f32_e32 v47, v51, v47                                // 0000000045A0: 025E5F33
	s_waitcnt lgkmcnt(0)                                       // 0000000045A4: BF8CC07F
	v_max3_f32 v62, |v80|, |v81|, v62                          // 0000000045A8: D1D3033E 04FAA350
	v_max3_f32 v62, |v82|, |v83|, v62                          // 0000000045B0: D1D3033E 04FAA752
	v_max3_f32 v62, |v84|, |v85|, v62                          // 0000000045B8: D1D3033E 04FAAB54
	v_max3_f32 v62, |v86|, |v87|, v62                          // 0000000045C0: D1D3033E 04FAAF56
	v_max3_f32 v62, |v88|, |v89|, v62                          // 0000000045C8: D1D3033E 04FAB358
	v_max3_f32 v62, |v90|, |v91|, v62                          // 0000000045D0: D1D3033E 04FAB75A
	v_max3_f32 v62, |v92|, |v93|, v62                          // 0000000045D8: D1D3033E 04FABB5C
	v_max3_f32 v62, |v94|, |v95|, v62                          // 0000000045E0: D1D3033E 04FABF5E
	s_nop 2                                                    // 0000000045E8: BF800002
	v_mov_b32_dpp v41, v62 row_ror:8 row_mask:0xf bank_mask:0xf// 0000000045EC: 7E5202FA FF01283E
	v_max_f32_e32 v62, v62, v41                                // 0000000045F4: 167C533E
	v_rcp_f32_e32 v62, v62                                     // 0000000045F8: 7E7C453E
	s_nop 1                                                    // 0000000045FC: BF800001
	v_mul_f32_e32 v62, 0x43700000, v62                         // 000000004600: 0A7C7CFF 43700000
	v_mul_f32_e32 v128, v62, v240                              // 000000004608: 0B01E13E
	v_mul_f32_e32 v129, v62, v241                              // 00000000460C: 0B03E33E
	v_mul_f32_e32 v130, v62, v242                              // 000000004610: 0B05E53E
	v_mul_f32_e32 v131, v62, v243                              // 000000004614: 0B07E73E
	v_mul_f32_e32 v132, v62, v244                              // 000000004618: 0B09E93E
	v_mul_f32_e32 v133, v62, v245                              // 00000000461C: 0B0BEB3E
	v_mul_f32_e32 v134, v62, v246                              // 000000004620: 0B0DED3E
	v_mul_f32_e32 v135, v62, v247                              // 000000004624: 0B0FEF3E
	v_cvt_pk_fp8_f32 v128, v128, v129                          // 000000004628: D2A20080 00030380
	v_cvt_pk_fp8_f32 v128, v130, v131 op_sel:[0,0,1]           // 000000004630: D2A24080 00030782
	v_cvt_pk_fp8_f32 v129, v132, v133                          // 000000004638: D2A20081 00030B84
	v_cvt_pk_fp8_f32 v129, v134, v135 op_sel:[0,0,1]           // 000000004640: D2A24081 00030F86
	ds_write_b32 v13, v128 offset:25088                        // 000000004648: D81A6200 0000800D
	ds_write_b32 v13, v129 offset:26112                        // 000000004650: D81A6600 0000810D
	v_mul_f32_e32 v192, v58, v192                              // 000000004658: 0B81813A
	v_mul_f32_e32 v193, v58, v193                              // 00000000465C: 0B83833A
	v_mul_f32_e32 v194, v58, v194                              // 000000004660: 0B85853A
	v_mul_f32_e32 v195, v58, v195                              // 000000004664: 0B87873A
	v_rcp_f32_e32 v58, v62                                     // 000000004668: 7E74453E
	s_waitcnt lgkmcnt(0)                                       // 00000000466C: BF8CC07F
	s_barrier                                                  // 000000004670: BF8A0000
	ds_read_b64 v[128:129], v12 offset:25088                   // 000000004674: D8EC6200 8000000C
	ds_read_b64 v[130:131], v12 offset:25216                   // 00000000467C: D8EC6280 8200000C
	ds_read_b64 v[132:133], v12 offset:26112                   // 000000004684: D8EC6600 8400000C
	ds_read_b64 v[134:135], v12 offset:26240                   // 00000000468C: D8EC6680 8600000C
	v_add_f32_e32 v224, v224, v192                             // 000000004694: 03C181E0
	v_add_f32_e32 v225, v225, v193                             // 000000004698: 03C383E1
	v_add_f32_e32 v226, v226, v194                             // 00000000469C: 03C585E2
	v_add_f32_e32 v227, v227, v195                             // 0000000046A0: 03C787E3
	s_waitcnt lgkmcnt(3)                                       // 0000000046A4: BF8CC37F
	v_mov_b32_dpp v136, v128 row_shl:8 row_mask:0xf bank_mask:0xf bound_ctrl:1// 0000000046A8: 7F1002FA FF090880
	v_and_b32_e32 v128, v128, v9                               // 0000000046B0: 27001380
	v_mov_b32_dpp v137, v129 row_shl:8 row_mask:0xf bank_mask:0xf bound_ctrl:1// 0000000046B4: 7F1202FA FF090881
	v_and_b32_e32 v129, v129, v9                               // 0000000046BC: 27021381
	s_waitcnt lgkmcnt(2)                                       // 0000000046C0: BF8CC27F
	v_mov_b32_dpp v138, v130 row_shl:8 row_mask:0xf bank_mask:0xf bound_ctrl:1// 0000000046C4: 7F1402FA FF090882
	v_and_b32_e32 v130, v130, v9                               // 0000000046CC: 27041382
	v_mov_b32_dpp v139, v131 row_shl:8 row_mask:0xf bank_mask:0xf bound_ctrl:1// 0000000046D0: 7F1602FA FF090883
	v_and_b32_e32 v131, v131, v9                               // 0000000046D8: 27061383
	s_waitcnt lgkmcnt(1)                                       // 0000000046DC: BF8CC17F
	v_mov_b32_dpp v140, v132 row_shl:8 row_mask:0xf bank_mask:0xf bound_ctrl:1// 0000000046E0: 7F1802FA FF090884
	v_and_b32_e32 v132, v132, v9                               // 0000000046E8: 27081384
	v_mov_b32_dpp v141, v133 row_shl:8 row_mask:0xf bank_mask:0xf bound_ctrl:1// 0000000046EC: 7F1A02FA FF090885
	v_and_b32_e32 v133, v133, v9                               // 0000000046F4: 270A1385
	s_waitcnt lgkmcnt(0)                                       // 0000000046F8: BF8CC07F
	v_mov_b32_dpp v142, v134 row_shl:8 row_mask:0xf bank_mask:0xf bound_ctrl:1// 0000000046FC: 7F1C02FA FF090886
	v_and_b32_e32 v134, v134, v9                               // 000000004704: 270C1386
	v_mov_b32_dpp v143, v135 row_shl:8 row_mask:0xf bank_mask:0xf bound_ctrl:1// 000000004708: 7F1E02FA FF090887
	v_and_b32_e32 v135, v135, v9                               // 000000004710: 270E1387
	s_waitcnt vmcnt(15)                                        // 000000004714: BF8C0F7F
	v_mfma_f32_16x16x32_fp8_fp8 v[192:195], a[96:97], v[128:129], 0// 000000004718: D3F300C0 0A030160
	buffer_load_dwordx4 a[80:83], v33, s[20:23], 0 offen offset:1024// 000000004720: E05C1400 80855021
	v_mfma_f32_16x16x32_fp8_fp8 v[192:195], a[98:99], v[130:131], v[192:195]// 000000004728: D3F300C0 0F030562
	v_mfma_f32_16x16x32_fp8_fp8 v[192:195], a[100:101], v[132:133], v[192:195]// 000000004730: D3F300C0 0F030964
	v_mfma_f32_16x16x32_fp8_fp8 v[192:195], a[102:103], v[134:135], v[192:195]// 000000004738: D3F300C0 0F030D66
	v_mfma_f32_16x16x32_fp8_fp8 v[192:195], a[104:105], v[136:137], v[192:195]// 000000004740: D3F300C0 0F031168
	buffer_load_dwordx4 a[84:87], v34, s[20:23], 0 offen offset:1024// 000000004748: E05C1400 80855422
	v_mfma_f32_16x16x32_fp8_fp8 v[192:195], a[106:107], v[138:139], v[192:195]// 000000004750: D3F300C0 0F03156A
	v_mfma_f32_16x16x32_fp8_fp8 v[192:195], a[108:109], v[140:141], v[192:195]// 000000004758: D3F300C0 0F03196C
	v_mfma_f32_16x16x32_fp8_fp8 v[192:195], a[110:111], v[142:143], v[192:195]// 000000004760: D3F300C0 0F031D6E
	v_mfma_f32_16x16x32_fp8_fp8 v[196:199], a[112:113], v[128:129], 0// 000000004768: D3F300C4 0A030170
	buffer_load_dwordx4 a[88:91], v35, s[20:23], 0 offen offset:1024// 000000004770: E05C1400 80855823
	v_mfma_f32_16x16x32_fp8_fp8 v[196:199], a[114:115], v[130:131], v[196:199]// 000000004778: D3F300C4 0F130572
	v_mfma_f32_16x16x32_fp8_fp8 v[196:199], a[116:117], v[132:133], v[196:199]// 000000004780: D3F300C4 0F130974
	v_mfma_f32_16x16x32_fp8_fp8 v[196:199], a[118:119], v[134:135], v[196:199]// 000000004788: D3F300C4 0F130D76
	v_mfma_f32_16x16x32_fp8_fp8 v[196:199], a[120:121], v[136:137], v[196:199]// 000000004790: D3F300C4 0F131178
	buffer_load_dwordx4 a[92:95], v36, s[20:23], 0 offen offset:1024// 000000004798: E05C1400 80855C24
	v_mfma_f32_16x16x32_fp8_fp8 v[196:199], a[122:123], v[138:139], v[196:199]// 0000000047A0: D3F300C4 0F13157A
	v_mfma_f32_16x16x32_fp8_fp8 v[196:199], a[124:125], v[140:141], v[196:199]// 0000000047A8: D3F300C4 0F13197C
	s_lshr_b32 s57, s70, 4                                     // 0000000047B0: 8F398446
	s_add_u32 s57, 48, s57                                     // 0000000047B4: 803939B0
	v_mfma_f32_16x16x32_fp8_fp8 v[196:199], a[126:127], v[142:143], v[196:199]// 0000000047B8: D3F300C4 0F131D7E
	s_cmp_ge_u32 s57, s73                                      // 0000000047C0: BF094939
	s_cselect_b32 s56, 0, s56                                  // 0000000047C4: 85383880
	v_add_u32_e32 v1, s56, v1                                  // 0000000047C8: 68020238
	s_addk_i32 s70, 0x100                                      // 0000000047CC: B7460100
	s_cmp_lt_i32 s70, s71                                      // 0000000047D0: BF044746
	s_cbranch_scc0 label_05BF                                  // 0000000047D4: BF84FC49
	s_branch label_05C2                                        // 0000000047D8: BF82FC4B

00000000000047dc <label_0977>:
	s_lshr_b32 s60, s71, 4                                     // 0000000047DC: 8F3C8447
	s_cmp_eq_i32 s60, s73                                      // 0000000047E0: BF00493C
	s_cbranch_scc1 label_0D38                                  // 0000000047E4: BF8503BE
	s_lshr_b32 s60, s71, 8                                     // 0000000047E8: 8F3C8847
	s_and_b32 s60, s60, 1                                      // 0000000047EC: 863C813C
	s_cmp_eq_i32 s60, 1                                        // 0000000047F0: BF00813C
	s_cbranch_scc1 label_0B5B                                  // 0000000047F4: BF8501DD
	s_waitcnt vmcnt(8) lgkmcnt(0)                              // 0000000047F8: BF8C0078
	s_barrier                                                  // 0000000047FC: BF8A0000
	v_mfma_f32_16x16x32_fp8_fp8 v[128:131], a[0:1], v[96:97], 0// 000000004800: D3F30080 0A02C100
	v_mfma_f32_16x16x32_fp8_fp8 v[128:131], a[2:3], v[98:99], v[128:131]// 000000004808: D3F30080 0E02C502
	v_mfma_f32_16x16x32_fp8_fp8 v[128:131], a[4:5], v[100:101], v[128:131]// 000000004810: D3F30080 0E02C904
	v_mfma_f32_16x16x32_fp8_fp8 v[128:131], a[6:7], v[102:103], v[128:131]// 000000004818: D3F30080 0E02CD06
	v_mfma_f32_16x16x32_fp8_fp8 v[132:135], a[8:9], v[96:97], 0// 000000004820: D3F30084 0A02C108
	v_mfma_f32_16x16x32_fp8_fp8 v[132:135], a[10:11], v[98:99], v[132:135]// 000000004828: D3F30084 0E12C50A
	v_mfma_f32_16x16x32_fp8_fp8 v[132:135], a[12:13], v[100:101], v[132:135]// 000000004830: D3F30084 0E12C90C
	v_mfma_f32_16x16x32_fp8_fp8 v[132:135], a[14:15], v[102:103], v[132:135]// 000000004838: D3F30084 0E12CD0E
	v_mfma_f32_16x16x32_fp8_fp8 v[136:139], a[16:17], v[96:97], 0// 000000004840: D3F30088 0A02C110
	v_mfma_f32_16x16x32_fp8_fp8 v[136:139], a[18:19], v[98:99], v[136:139]// 000000004848: D3F30088 0E22C512
	v_mfma_f32_16x16x32_fp8_fp8 v[136:139], a[20:21], v[100:101], v[136:139]// 000000004850: D3F30088 0E22C914
	v_mfma_f32_16x16x32_fp8_fp8 v[136:139], a[22:23], v[102:103], v[136:139]// 000000004858: D3F30088 0E22CD16
	v_mfma_f32_16x16x32_fp8_fp8 v[140:143], a[24:25], v[96:97], 0// 000000004860: D3F3008C 0A02C118
	v_mfma_f32_16x16x32_fp8_fp8 v[140:143], a[26:27], v[98:99], v[140:143]// 000000004868: D3F3008C 0E32C51A
	v_mfma_f32_16x16x32_fp8_fp8 v[140:143], a[28:29], v[100:101], v[140:143]// 000000004870: D3F3008C 0E32C91C
	v_mfma_f32_16x16x32_fp8_fp8 v[140:143], a[30:31], v[102:103], v[140:143]// 000000004878: D3F3008C 0E32CD1E
	v_mov_b32_dpp v41, v52 row_shr:4 row_mask:0xf bank_mask:0xf// 000000004880: 7E5202FA FF011434
	v_mov_b32_dpp v42, v52 row_shl:4 row_mask:0xf bank_mask:0xf// 000000004888: 7E5402FA FF010434
	v_cndmask_b32_e64 v248, v52, v41, s[44:45]                 // 000000004890: D10000F8 00B25334
	v_cndmask_b32_e64 v249, v42, v52, s[44:45]                 // 000000004898: D10000F9 00B2692A
	v_mov_b32_dpp v41, v72 row_shr:4 row_mask:0xf bank_mask:0xf// 0000000048A0: 7E5202FA FF011448
	v_mov_b32_dpp v42, v72 row_shl:4 row_mask:0xf bank_mask:0xf// 0000000048A8: 7E5402FA FF010448
	v_cndmask_b32_e64 v252, v72, v41, s[44:45]                 // 0000000048B0: D10000FC 00B25348
	v_cndmask_b32_e64 v253, v42, v72, s[44:45]                 // 0000000048B8: D10000FD 00B2912A
	v_or_b32_dpp v128, v136, v128 row_shr:8 row_mask:0xf bank_mask:0xf bound_ctrl:1// 0000000048C0: 290100FA FF091888
	v_or_b32_dpp v129, v137, v129 row_shr:8 row_mask:0xf bank_mask:0xf bound_ctrl:1// 0000000048C8: 290302FA FF091889
	v_or_b32_dpp v130, v138, v130 row_shr:8 row_mask:0xf bank_mask:0xf bound_ctrl:1// 0000000048D0: 290504FA FF09188A
	v_or_b32_dpp v131, v139, v131 row_shr:8 row_mask:0xf bank_mask:0xf bound_ctrl:1// 0000000048D8: 290706FA FF09188B
	v_or_b32_dpp v132, v140, v132 row_shr:8 row_mask:0xf bank_mask:0xf bound_ctrl:1// 0000000048E0: 290908FA FF09188C
	v_or_b32_dpp v133, v141, v133 row_shr:8 row_mask:0xf bank_mask:0xf bound_ctrl:1// 0000000048E8: 290B0AFA FF09188D
	v_or_b32_dpp v134, v142, v134 row_shr:8 row_mask:0xf bank_mask:0xf bound_ctrl:1// 0000000048F0: 290D0CFA FF09188E
	v_or_b32_dpp v135, v143, v135 row_shr:8 row_mask:0xf bank_mask:0xf bound_ctrl:1// 0000000048F8: 290F0EFA FF09188F
	v_mul_f32_e32 v128, v54, v128                              // 000000004900: 0B010136
	v_mul_f32_e32 v129, v54, v129                              // 000000004904: 0B030336
	v_mul_f32_e32 v130, v54, v130                              // 000000004908: 0B050536
	v_mul_f32_e32 v131, v54, v131                              // 00000000490C: 0B070736
	v_mul_f32_e32 v132, v54, v132                              // 000000004910: 0B090936
	v_mul_f32_e32 v133, v54, v133                              // 000000004914: 0B0B0B36
	v_mul_f32_e32 v134, v54, v134                              // 000000004918: 0B0D0D36
	v_mul_f32_e32 v135, v54, v135                              // 00000000491C: 0B0F0F36
	v_mul_f32_dpp v128, v248, v128 quad_perm:[0,0,0,0] row_mask:0xf bank_mask:0xf// 000000004920: 0B0100FA FF0000F8
	v_mul_f32_dpp v129, v248, v129 quad_perm:[1,1,1,1] row_mask:0xf bank_mask:0xf// 000000004928: 0B0302FA FF0055F8
	v_mul_f32_dpp v130, v248, v130 quad_perm:[2,2,2,2] row_mask:0xf bank_mask:0xf// 000000004930: 0B0504FA FF00AAF8
	v_mul_f32_dpp v131, v248, v131 quad_perm:[3,3,3,3] row_mask:0xf bank_mask:0xf// 000000004938: 0B0706FA FF00FFF8
	v_mul_f32_dpp v132, v249, v132 quad_perm:[0,0,0,0] row_mask:0xf bank_mask:0xf// 000000004940: 0B0908FA FF0000F9
	v_mul_f32_dpp v133, v249, v133 quad_perm:[1,1,1,1] row_mask:0xf bank_mask:0xf// 000000004948: 0B0B0AFA FF0055F9
	v_mul_f32_dpp v134, v249, v134 quad_perm:[2,2,2,2] row_mask:0xf bank_mask:0xf// 000000004950: 0B0D0CFA FF00AAF9
	v_mul_f32_dpp v135, v249, v135 quad_perm:[3,3,3,3] row_mask:0xf bank_mask:0xf// 000000004958: 0B0F0EFA FF00FFF9
	s_and_b32 s60, s72, 0xff                                   // 000000004960: 863CFF48 000000FF
	v_mov_b32_e32 v79, s60                                     // 000000004968: 7E9E023C
	v_lshrrev_b32_e32 v240, 4, v0                              // 00000000496C: 21E00084
	v_mul_i32_i24_e32 v240, 4, v240                            // 000000004970: 0DE1E084
	v_and_b32_e32 v41, 15, v0                                  // 000000004974: 2652008F
	v_lshrrev_b32_e32 v41, 3, v41                              // 000000004978: 20525283
	v_mul_i32_i24_e32 v41, 0x80, v41                           // 00000000497C: 0C5252FF 00000080
	v_add_u32_e32 v240, v41, v240                              // 000000004984: 69E1E129
	s_mul_i32 s60, s7, 16                                      // 000000004988: 923C9007
	v_add_u32_e32 v240, s60, v240                              // 00000000498C: 69E1E03C
	v_add_u32_e32 v241, 1, v240                                // 000000004990: 69E3E081
	v_add_u32_e32 v242, 2, v240                                // 000000004994: 69E5E082
	v_add_u32_e32 v243, 3, v240                                // 000000004998: 69E7E083
	v_cmp_lt_u32_e64 s[40:41], v240, v79                       // 00000000499C: D0C90028 00029FF0
	v_add_u32_e32 v240, 64, v240                               // 0000000049A4: 69E1E0C0
	s_nop 0                                                    // 0000000049A8: BF800000
	v_cndmask_b32_e64 v128, v69, v128, s[40:41]                // 0000000049AC: D1000080 00A30145
	v_cmp_lt_u32_e64 s[40:41], v241, v79                       // 0000000049B4: D0C90028 00029FF1
	v_add_u32_e32 v241, 64, v241                               // 0000000049BC: 69E3E2C0
	s_nop 0                                                    // 0000000049C0: BF800000
	v_cndmask_b32_e64 v129, v69, v129, s[40:41]                // 0000000049C4: D1000081 00A30345
	v_cmp_lt_u32_e64 s[40:41], v242, v79                       // 0000000049CC: D0C90028 00029FF2
	v_add_u32_e32 v242, 64, v242                               // 0000000049D4: 69E5E4C0
	s_nop 0                                                    // 0000000049D8: BF800000
	v_cndmask_b32_e64 v130, v69, v130, s[40:41]                // 0000000049DC: D1000082 00A30545
	v_cmp_lt_u32_e64 s[40:41], v243, v79                       // 0000000049E4: D0C90028 00029FF3
	v_add_u32_e32 v243, 64, v243                               // 0000000049EC: 69E7E6C0
	s_nop 0                                                    // 0000000049F0: BF800000
	v_cndmask_b32_e64 v131, v69, v131, s[40:41]                // 0000000049F4: D1000083 00A30745
	v_cmp_lt_u32_e64 s[40:41], v240, v79                       // 0000000049FC: D0C90028 00029FF0
	v_add_u32_e32 v240, 64, v240                               // 000000004A04: 69E1E0C0
	s_nop 0                                                    // 000000004A08: BF800000
	v_cndmask_b32_e64 v132, v69, v132, s[40:41]                // 000000004A0C: D1000084 00A30945
	v_cmp_lt_u32_e64 s[40:41], v241, v79                       // 000000004A14: D0C90028 00029FF1
	v_add_u32_e32 v241, 64, v241                               // 000000004A1C: 69E3E2C0
	s_nop 0                                                    // 000000004A20: BF800000
	v_cndmask_b32_e64 v133, v69, v133, s[40:41]                // 000000004A24: D1000085 00A30B45
	v_cmp_lt_u32_e64 s[40:41], v242, v79                       // 000000004A2C: D0C90028 00029FF2
	v_add_u32_e32 v242, 64, v242                               // 000000004A34: 69E5E4C0
	s_nop 0                                                    // 000000004A38: BF800000
	v_cndmask_b32_e64 v134, v69, v134, s[40:41]                // 000000004A3C: D1000086 00A30D45
	v_cmp_lt_u32_e64 s[40:41], v243, v79                       // 000000004A44: D0C90028 00029FF3
	v_add_u32_e32 v243, 64, v243                               // 000000004A4C: 69E7E6C0
	s_nop 0                                                    // 000000004A50: BF800000
	v_cndmask_b32_e64 v135, v69, v135, s[40:41]                // 000000004A54: D1000087 00A30F45
	v_mov_b32_e32 v62, v128                                    // 000000004A5C: 7E7C0380
	v_max3_f32 v62, v128, v129, v62                            // 000000004A60: D1D3003E 04FB0380
	v_max3_f32 v62, v130, v131, v62                            // 000000004A68: D1D3003E 04FB0782
	v_max3_f32 v62, v132, v133, v62                            // 000000004A70: D1D3003E 04FB0B84
	v_max3_f32 v62, v134, v135, v62                            // 000000004A78: D1D3003E 04FB0F86
	ds_write_b32 v11, v62 offset:16896                         // 000000004A80: D81A4200 00003E0B
	v_mul_u32_u24_dpp v41, v20, v68 row_newbcast:1 row_mask:0xf bank_mask:0xf// 000000004A88: 105288FA FF015114
	v_mul_u32_u24_dpp v42, v20, v68 row_newbcast:5 row_mask:0xf bank_mask:0xf// 000000004A90: 105488FA FF015514
	v_mul_u32_u24_dpp v43, v20, v68 row_newbcast:9 row_mask:0xf bank_mask:0xf// 000000004A98: 105688FA FF015914
	v_mul_u32_u24_dpp v44, v20, v68 row_newbcast:13 row_mask:0xf bank_mask:0xf// 000000004AA0: 105888FA FF015D14
	v_add_u32_e32 v37, v41, v7                                 // 000000004AA8: 684A0F29
	v_add_u32_e32 v38, v42, v7                                 // 000000004AAC: 684C0F2A
	v_add_u32_e32 v39, v43, v7                                 // 000000004AB0: 684E0F2B
	v_add_u32_e32 v40, v44, v7                                 // 000000004AB4: 68500F2C
	s_waitcnt lgkmcnt(0)                                       // 000000004AB8: BF8CC07F
	s_barrier                                                  // 000000004ABC: BF8A0000
	ds_read_b32 v80, v10 offset:16896                          // 000000004AC0: D86C4200 5000000A
	ds_read_b32 v81, v10 offset:16960                          // 000000004AC8: D86C4240 5100000A
	ds_read_b32 v82, v10 offset:17024                          // 000000004AD0: D86C4280 5200000A
	ds_read_b32 v83, v10 offset:17088                          // 000000004AD8: D86C42C0 5300000A
	ds_read_b32 v84, v10 offset:17152                          // 000000004AE0: D86C4300 5400000A
	ds_read_b32 v85, v10 offset:17216                          // 000000004AE8: D86C4340 5500000A
	ds_read_b32 v86, v10 offset:17280                          // 000000004AF0: D86C4380 5600000A
	ds_read_b32 v87, v10 offset:17344                          // 000000004AF8: D86C43C0 5700000A
	ds_read_b32 v88, v10 offset:17408                          // 000000004B00: D86C4400 5800000A
	ds_read_b32 v89, v10 offset:17472                          // 000000004B08: D86C4440 5900000A
	ds_read_b32 v90, v10 offset:17536                          // 000000004B10: D86C4480 5A00000A
	ds_read_b32 v91, v10 offset:17600                          // 000000004B18: D86C44C0 5B00000A
	ds_read_b32 v92, v10 offset:17664                          // 000000004B20: D86C4500 5C00000A
	ds_read_b32 v93, v10 offset:17728                          // 000000004B28: D86C4540 5D00000A
	ds_read_b32 v94, v10 offset:17792                          // 000000004B30: D86C4580 5E00000A
	ds_read_b32 v95, v10 offset:17856                          // 000000004B38: D86C45C0 5F00000A
	v_mul_f32_e32 v224, v63, v224                              // 000000004B40: 0BC1C13F
	v_mul_f32_e32 v225, v63, v225                              // 000000004B44: 0BC3C33F
	v_mul_f32_e32 v226, v63, v226                              // 000000004B48: 0BC5C53F
	v_mul_f32_e32 v227, v63, v227                              // 000000004B4C: 0BC7C73F
	v_or_b32_dpp v192, v196, v192 row_shr:8 row_mask:0xf bank_mask:0xf bound_ctrl:1// 000000004B50: 298180FA FF0918C4
	v_or_b32_dpp v193, v197, v193 row_shr:8 row_mask:0xf bank_mask:0xf bound_ctrl:1// 000000004B58: 298382FA FF0918C5
	v_or_b32_dpp v194, v198, v194 row_shr:8 row_mask:0xf bank_mask:0xf bound_ctrl:1// 000000004B60: 298584FA FF0918C6
	v_or_b32_dpp v195, v199, v195 row_shr:8 row_mask:0xf bank_mask:0xf bound_ctrl:1// 000000004B68: 298786FA FF0918C7
	s_waitcnt lgkmcnt(0)                                       // 000000004B70: BF8CC07F
	v_max3_f32 v62, v80, v81, v62                              // 000000004B74: D1D3003E 04FAA350
	v_max3_f32 v62, v82, v83, v62                              // 000000004B7C: D1D3003E 04FAA752
	v_max3_f32 v62, v84, v85, v62                              // 000000004B84: D1D3003E 04FAAB54
	v_max3_f32 v62, v86, v87, v62                              // 000000004B8C: D1D3003E 04FAAF56
	v_max3_f32 v62, v88, v89, v62                              // 000000004B94: D1D3003E 04FAB358
	v_max3_f32 v62, v90, v91, v62                              // 000000004B9C: D1D3003E 04FAB75A
	v_max3_f32 v62, v92, v93, v62                              // 000000004BA4: D1D3003E 04FABB5C
	v_max3_f32 v62, v94, v95, v62                              // 000000004BAC: D1D3003E 04FABF5E
	v_cmp_eq_u32_e64 s[40:41], v69, v14                        // 000000004BB4: D0CA0028 00021D45
	s_nop 1                                                    // 000000004BBC: BF800001
	v_mov_b32_dpp v41, v62 row_ror:8 row_mask:0xf bank_mask:0xf// 000000004BC0: 7E5202FA FF01283E
	v_max_f32_e32 v62, v62, v41                                // 000000004BC8: 167C533E
	v_max_f32_e32 v18, v62, v14                                // 000000004BCC: 16241D3E
	v_mul_f32_e32 v67, s64, v18                                // 000000004BD0: 0A862440
	v_fma_f32 v128, v128, s64, -v67                            // 000000004BD4: D1CB0080 850C8180
	v_fma_f32 v129, v129, s64, -v67                            // 000000004BDC: D1CB0081 850C8181
	v_fma_f32 v130, v130, s64, -v67                            // 000000004BE4: D1CB0082 850C8182
	v_fma_f32 v131, v131, s64, -v67                            // 000000004BEC: D1CB0083 850C8183
	v_fma_f32 v132, v132, s64, -v67                            // 000000004BF4: D1CB0084 850C8184
	v_fma_f32 v133, v133, s64, -v67                            // 000000004BFC: D1CB0085 850C8185
	v_fma_f32 v134, v134, s64, -v67                            // 000000004C04: D1CB0086 850C8186
	v_fma_f32 v135, v135, s64, -v67                            // 000000004C0C: D1CB0087 850C8187
	v_exp_f32_e32 v128, v128                                   // 000000004C14: 7F004180
	v_exp_f32_e32 v129, v129                                   // 000000004C18: 7F024181
	v_exp_f32_e32 v130, v130                                   // 000000004C1C: 7F044182
	v_exp_f32_e32 v131, v131                                   // 000000004C20: 7F064183
	v_exp_f32_e32 v132, v132                                   // 000000004C24: 7F084184
	v_exp_f32_e32 v133, v133                                   // 000000004C28: 7F0A4185
	v_exp_f32_e32 v134, v134                                   // 000000004C2C: 7F0C4186
	v_exp_f32_e32 v135, v135                                   // 000000004C30: 7F0E4187
	v_mul_f32_dpp v240, v252, v128 quad_perm:[0,0,0,0] row_mask:0xf bank_mask:0xf// 000000004C34: 0BE100FA FF0000FC
	v_mul_f32_dpp v241, v252, v129 quad_perm:[1,1,1,1] row_mask:0xf bank_mask:0xf// 000000004C3C: 0BE302FA FF0055FC
	v_mul_f32_dpp v242, v252, v130 quad_perm:[2,2,2,2] row_mask:0xf bank_mask:0xf// 000000004C44: 0BE504FA FF00AAFC
	v_mul_f32_dpp v243, v252, v131 quad_perm:[3,3,3,3] row_mask:0xf bank_mask:0xf// 000000004C4C: 0BE706FA FF00FFFC
	v_mul_f32_dpp v244, v253, v132 quad_perm:[0,0,0,0] row_mask:0xf bank_mask:0xf// 000000004C54: 0BE908FA FF0000FD
	v_mul_f32_dpp v245, v253, v133 quad_perm:[1,1,1,1] row_mask:0xf bank_mask:0xf// 000000004C5C: 0BEB0AFA FF0055FD
	v_mul_f32_dpp v246, v253, v134 quad_perm:[2,2,2,2] row_mask:0xf bank_mask:0xf// 000000004C64: 0BED0CFA FF00AAFD
	v_mul_f32_dpp v247, v253, v135 quad_perm:[3,3,3,3] row_mask:0xf bank_mask:0xf// 000000004C6C: 0BEF0EFA FF00FFFD
	v_mov_b32_e32 v62, 0x358637bd                              // 000000004C74: 7E7C02FF 358637BD
	v_max3_f32 v62, |v240|, |v241|, v62                        // 000000004C7C: D1D3033E 04FBE3F0
	v_max3_f32 v62, |v242|, |v243|, v62                        // 000000004C84: D1D3033E 04FBE7F2
	v_max3_f32 v62, |v244|, |v245|, v62                        // 000000004C8C: D1D3033E 04FBEBF4
	v_max3_f32 v62, |v246|, |v247|, v62                        // 000000004C94: D1D3033E 04FBEFF6
	ds_write_b32 v11, v62 offset:20992                         // 000000004C9C: D81A5200 00003E0B
	v_sub_f32_e32 v63, v14, v18                                // 000000004CA4: 047E250E
	v_cndmask_b32_e64 v63, v63, 0, s[40:41]                    // 000000004CA8: D100003F 00A1013F
	v_mov_b32_e32 v14, v18                                     // 000000004CB0: 7E1C0312
	v_mul_f32_e32 v63, s64, v63                                // 000000004CB4: 0A7E7E40
	v_exp_f32_e32 v63, v63                                     // 000000004CB8: 7E7E413F
	s_waitcnt lgkmcnt(0)                                       // 000000004CBC: BF8CC07F
	s_barrier                                                  // 000000004CC0: BF8A0000
	ds_read_b32 v80, v10 offset:20992                          // 000000004CC4: D86C5200 5000000A
	ds_read_b32 v81, v10 offset:21056                          // 000000004CCC: D86C5240 5100000A
	ds_read_b32 v82, v10 offset:21120                          // 000000004CD4: D86C5280 5200000A
	ds_read_b32 v83, v10 offset:21184                          // 000000004CDC: D86C52C0 5300000A
	ds_read_b32 v84, v10 offset:21248                          // 000000004CE4: D86C5300 5400000A
	ds_read_b32 v85, v10 offset:21312                          // 000000004CEC: D86C5340 5500000A
	ds_read_b32 v86, v10 offset:21376                          // 000000004CF4: D86C5380 5600000A
	ds_read_b32 v87, v10 offset:21440                          // 000000004CFC: D86C53C0 5700000A
	ds_read_b32 v88, v10 offset:21504                          // 000000004D04: D86C5400 5800000A
	ds_read_b32 v89, v10 offset:21568                          // 000000004D0C: D86C5440 5900000A
	ds_read_b32 v90, v10 offset:21632                          // 000000004D14: D86C5480 5A00000A
	ds_read_b32 v91, v10 offset:21696                          // 000000004D1C: D86C54C0 5B00000A
	ds_read_b32 v92, v10 offset:21760                          // 000000004D24: D86C5500 5C00000A
	ds_read_b32 v93, v10 offset:21824                          // 000000004D2C: D86C5540 5D00000A
	ds_read_b32 v94, v10 offset:21888                          // 000000004D34: D86C5580 5E00000A
	ds_read_b32 v95, v10 offset:21952                          // 000000004D3C: D86C55C0 5F00000A
	v_mul_f32_e32 v47, v63, v47                                // 000000004D44: 0A5E5F3F
	v_mov_b32_e32 v51, v128                                    // 000000004D48: 7E660380
	v_add_f32_e32 v51, v129, v51                               // 000000004D4C: 02666781
	v_add_f32_e32 v51, v130, v51                               // 000000004D50: 02666782
	v_add_f32_e32 v51, v131, v51                               // 000000004D54: 02666783
	v_add_f32_e32 v51, v132, v51                               // 000000004D58: 02666784
	v_add_f32_e32 v51, v133, v51                               // 000000004D5C: 02666785
	v_add_f32_e32 v51, v134, v51                               // 000000004D60: 02666786
	v_add_f32_e32 v51, v135, v51                               // 000000004D64: 02666787
	v_add_f32_e32 v47, v51, v47                                // 000000004D68: 025E5F33
	s_waitcnt lgkmcnt(0)                                       // 000000004D6C: BF8CC07F
	v_max3_f32 v62, |v80|, |v81|, v62                          // 000000004D70: D1D3033E 04FAA350
	v_max3_f32 v62, |v82|, |v83|, v62                          // 000000004D78: D1D3033E 04FAA752
	v_max3_f32 v62, |v84|, |v85|, v62                          // 000000004D80: D1D3033E 04FAAB54
	v_max3_f32 v62, |v86|, |v87|, v62                          // 000000004D88: D1D3033E 04FAAF56
	v_max3_f32 v62, |v88|, |v89|, v62                          // 000000004D90: D1D3033E 04FAB358
	v_max3_f32 v62, |v90|, |v91|, v62                          // 000000004D98: D1D3033E 04FAB75A
	v_max3_f32 v62, |v92|, |v93|, v62                          // 000000004DA0: D1D3033E 04FABB5C
	v_max3_f32 v62, |v94|, |v95|, v62                          // 000000004DA8: D1D3033E 04FABF5E
	s_nop 2                                                    // 000000004DB0: BF800002
	v_mov_b32_dpp v41, v62 row_ror:8 row_mask:0xf bank_mask:0xf// 000000004DB4: 7E5202FA FF01283E
	v_max_f32_e32 v62, v62, v41                                // 000000004DBC: 167C533E
	v_rcp_f32_e32 v62, v62                                     // 000000004DC0: 7E7C453E
	s_nop 1                                                    // 000000004DC4: BF800001
	v_mul_f32_e32 v62, 0x43700000, v62                         // 000000004DC8: 0A7C7CFF 43700000
	v_mul_f32_e32 v128, v62, v240                              // 000000004DD0: 0B01E13E
	v_mul_f32_e32 v129, v62, v241                              // 000000004DD4: 0B03E33E
	v_mul_f32_e32 v130, v62, v242                              // 000000004DD8: 0B05E53E
	v_mul_f32_e32 v131, v62, v243                              // 000000004DDC: 0B07E73E
	v_mul_f32_e32 v132, v62, v244                              // 000000004DE0: 0B09E93E
	v_mul_f32_e32 v133, v62, v245                              // 000000004DE4: 0B0BEB3E
	v_mul_f32_e32 v134, v62, v246                              // 000000004DE8: 0B0DED3E
	v_mul_f32_e32 v135, v62, v247                              // 000000004DEC: 0B0FEF3E
	v_cvt_pk_fp8_f32 v128, v128, v129                          // 000000004DF0: D2A20080 00030380
	v_cvt_pk_fp8_f32 v128, v130, v131 op_sel:[0,0,1]           // 000000004DF8: D2A24080 00030782
	v_cvt_pk_fp8_f32 v129, v132, v133                          // 000000004E00: D2A20081 00030B84
	v_cvt_pk_fp8_f32 v129, v134, v135 op_sel:[0,0,1]           // 000000004E08: D2A24081 00030F86
	ds_write_b32 v13, v128 offset:25088                        // 000000004E10: D81A6200 0000800D
	ds_write_b32 v13, v129 offset:26112                        // 000000004E18: D81A6600 0000810D
	v_mul_f32_e32 v192, v58, v192                              // 000000004E20: 0B81813A
	v_mul_f32_e32 v193, v58, v193                              // 000000004E24: 0B83833A
	v_mul_f32_e32 v194, v58, v194                              // 000000004E28: 0B85853A
	v_mul_f32_e32 v195, v58, v195                              // 000000004E2C: 0B87873A
	v_rcp_f32_e32 v58, v62                                     // 000000004E30: 7E74453E
	s_waitcnt lgkmcnt(0)                                       // 000000004E34: BF8CC07F
	s_barrier                                                  // 000000004E38: BF8A0000
	ds_read_b64 v[128:129], v12 offset:25088                   // 000000004E3C: D8EC6200 8000000C
	ds_read_b64 v[130:131], v12 offset:25216                   // 000000004E44: D8EC6280 8200000C
	ds_read_b64 v[132:133], v12 offset:26112                   // 000000004E4C: D8EC6600 8400000C
	ds_read_b64 v[134:135], v12 offset:26240                   // 000000004E54: D8EC6680 8600000C
	v_add_f32_e32 v224, v224, v192                             // 000000004E5C: 03C181E0
	v_add_f32_e32 v225, v225, v193                             // 000000004E60: 03C383E1
	v_add_f32_e32 v226, v226, v194                             // 000000004E64: 03C585E2
	v_add_f32_e32 v227, v227, v195                             // 000000004E68: 03C787E3
	s_waitcnt lgkmcnt(3)                                       // 000000004E6C: BF8CC37F
	v_mov_b32_dpp v136, v128 row_shl:8 row_mask:0xf bank_mask:0xf bound_ctrl:1// 000000004E70: 7F1002FA FF090880
	v_and_b32_e32 v128, v128, v9                               // 000000004E78: 27001380
	v_mov_b32_dpp v137, v129 row_shl:8 row_mask:0xf bank_mask:0xf bound_ctrl:1// 000000004E7C: 7F1202FA FF090881
	v_and_b32_e32 v129, v129, v9                               // 000000004E84: 27021381
	s_waitcnt lgkmcnt(2)                                       // 000000004E88: BF8CC27F
	v_mov_b32_dpp v138, v130 row_shl:8 row_mask:0xf bank_mask:0xf bound_ctrl:1// 000000004E8C: 7F1402FA FF090882
	v_and_b32_e32 v130, v130, v9                               // 000000004E94: 27041382
	v_mov_b32_dpp v139, v131 row_shl:8 row_mask:0xf bank_mask:0xf bound_ctrl:1// 000000004E98: 7F1602FA FF090883
	v_and_b32_e32 v131, v131, v9                               // 000000004EA0: 27061383
	s_waitcnt lgkmcnt(1)                                       // 000000004EA4: BF8CC17F
	v_mov_b32_dpp v140, v132 row_shl:8 row_mask:0xf bank_mask:0xf bound_ctrl:1// 000000004EA8: 7F1802FA FF090884
	v_and_b32_e32 v132, v132, v9                               // 000000004EB0: 27081384
	v_mov_b32_dpp v141, v133 row_shl:8 row_mask:0xf bank_mask:0xf bound_ctrl:1// 000000004EB4: 7F1A02FA FF090885
	v_and_b32_e32 v133, v133, v9                               // 000000004EBC: 270A1385
	s_waitcnt lgkmcnt(0)                                       // 000000004EC0: BF8CC07F
	v_mov_b32_dpp v142, v134 row_shl:8 row_mask:0xf bank_mask:0xf bound_ctrl:1// 000000004EC4: 7F1C02FA FF090886
	v_and_b32_e32 v134, v134, v9                               // 000000004ECC: 270C1386
	v_mov_b32_dpp v143, v135 row_shl:8 row_mask:0xf bank_mask:0xf bound_ctrl:1// 000000004ED0: 7F1E02FA FF090887
	v_and_b32_e32 v135, v135, v9                               // 000000004ED8: 270E1387
	s_waitcnt vmcnt(0)                                         // 000000004EDC: BF8C0F70
	s_barrier                                                  // 000000004EE0: BF8A0000
	v_mfma_f32_16x16x32_fp8_fp8 v[192:195], a[64:65], v[128:129], 0// 000000004EE4: D3F300C0 0A030140
	v_mfma_f32_16x16x32_fp8_fp8 v[192:195], a[66:67], v[130:131], v[192:195]// 000000004EEC: D3F300C0 0F030542
	v_mfma_f32_16x16x32_fp8_fp8 v[192:195], a[68:69], v[132:133], v[192:195]// 000000004EF4: D3F300C0 0F030944
	v_mfma_f32_16x16x32_fp8_fp8 v[192:195], a[70:71], v[134:135], v[192:195]// 000000004EFC: D3F300C0 0F030D46
	v_mfma_f32_16x16x32_fp8_fp8 v[192:195], a[72:73], v[136:137], v[192:195]// 000000004F04: D3F300C0 0F031148
	v_mfma_f32_16x16x32_fp8_fp8 v[192:195], a[74:75], v[138:139], v[192:195]// 000000004F0C: D3F300C0 0F03154A
	v_mfma_f32_16x16x32_fp8_fp8 v[192:195], a[76:77], v[140:141], v[192:195]// 000000004F14: D3F300C0 0F03194C
	v_mfma_f32_16x16x32_fp8_fp8 v[192:195], a[78:79], v[142:143], v[192:195]// 000000004F1C: D3F300C0 0F031D4E
	v_mfma_f32_16x16x32_fp8_fp8 v[196:199], a[80:81], v[128:129], 0// 000000004F24: D3F300C4 0A030150
	v_mfma_f32_16x16x32_fp8_fp8 v[196:199], a[82:83], v[130:131], v[196:199]// 000000004F2C: D3F300C4 0F130552
	v_mfma_f32_16x16x32_fp8_fp8 v[196:199], a[84:85], v[132:133], v[196:199]// 000000004F34: D3F300C4 0F130954
	v_mfma_f32_16x16x32_fp8_fp8 v[196:199], a[86:87], v[134:135], v[196:199]// 000000004F3C: D3F300C4 0F130D56
	v_mfma_f32_16x16x32_fp8_fp8 v[196:199], a[88:89], v[136:137], v[196:199]// 000000004F44: D3F300C4 0F131158
	v_mfma_f32_16x16x32_fp8_fp8 v[196:199], a[90:91], v[138:139], v[196:199]// 000000004F4C: D3F300C4 0F13155A
	v_mfma_f32_16x16x32_fp8_fp8 v[196:199], a[92:93], v[140:141], v[196:199]// 000000004F54: D3F300C4 0F13195C
	v_mfma_f32_16x16x32_fp8_fp8 v[196:199], a[94:95], v[142:143], v[196:199]// 000000004F5C: D3F300C4 0F131D5E
	s_nop 4                                                    // 000000004F64: BF800004
	s_branch label_0D38                                        // 000000004F68: BF8201DD

0000000000004f6c <label_0B5B>:
	s_waitcnt vmcnt(8) lgkmcnt(0)                              // 000000004F6C: BF8C0078
	s_barrier                                                  // 000000004F70: BF8A0000
	v_mfma_f32_16x16x32_fp8_fp8 v[128:131], a[32:33], v[96:97], 0// 000000004F74: D3F30080 0A02C120
	v_mfma_f32_16x16x32_fp8_fp8 v[128:131], a[34:35], v[98:99], v[128:131]// 000000004F7C: D3F30080 0E02C522
	v_mfma_f32_16x16x32_fp8_fp8 v[128:131], a[36:37], v[100:101], v[128:131]// 000000004F84: D3F30080 0E02C924
	v_mfma_f32_16x16x32_fp8_fp8 v[128:131], a[38:39], v[102:103], v[128:131]// 000000004F8C: D3F30080 0E02CD26
	v_mfma_f32_16x16x32_fp8_fp8 v[132:135], a[40:41], v[96:97], 0// 000000004F94: D3F30084 0A02C128
	v_mfma_f32_16x16x32_fp8_fp8 v[132:135], a[42:43], v[98:99], v[132:135]// 000000004F9C: D3F30084 0E12C52A
	v_mfma_f32_16x16x32_fp8_fp8 v[132:135], a[44:45], v[100:101], v[132:135]// 000000004FA4: D3F30084 0E12C92C
	v_mfma_f32_16x16x32_fp8_fp8 v[132:135], a[46:47], v[102:103], v[132:135]// 000000004FAC: D3F30084 0E12CD2E
	v_mfma_f32_16x16x32_fp8_fp8 v[136:139], a[48:49], v[96:97], 0// 000000004FB4: D3F30088 0A02C130
	v_mfma_f32_16x16x32_fp8_fp8 v[136:139], a[50:51], v[98:99], v[136:139]// 000000004FBC: D3F30088 0E22C532
	v_mfma_f32_16x16x32_fp8_fp8 v[136:139], a[52:53], v[100:101], v[136:139]// 000000004FC4: D3F30088 0E22C934
	v_mfma_f32_16x16x32_fp8_fp8 v[136:139], a[54:55], v[102:103], v[136:139]// 000000004FCC: D3F30088 0E22CD36
	v_mfma_f32_16x16x32_fp8_fp8 v[140:143], a[56:57], v[96:97], 0// 000000004FD4: D3F3008C 0A02C138
	v_mfma_f32_16x16x32_fp8_fp8 v[140:143], a[58:59], v[98:99], v[140:143]// 000000004FDC: D3F3008C 0E32C53A
	v_mfma_f32_16x16x32_fp8_fp8 v[140:143], a[60:61], v[100:101], v[140:143]// 000000004FE4: D3F3008C 0E32C93C
	v_mfma_f32_16x16x32_fp8_fp8 v[140:143], a[62:63], v[102:103], v[140:143]// 000000004FEC: D3F3008C 0E32CD3E
	v_mov_b32_dpp v41, v53 row_shr:4 row_mask:0xf bank_mask:0xf// 000000004FF4: 7E5202FA FF011435
	v_mov_b32_dpp v42, v53 row_shl:4 row_mask:0xf bank_mask:0xf// 000000004FFC: 7E5402FA FF010435
	v_cndmask_b32_e64 v248, v53, v41, s[44:45]                 // 000000005004: D10000F8 00B25335
	v_cndmask_b32_e64 v249, v42, v53, s[44:45]                 // 00000000500C: D10000F9 00B26B2A
	v_mov_b32_dpp v41, v73 row_shr:4 row_mask:0xf bank_mask:0xf// 000000005014: 7E5202FA FF011449
	v_mov_b32_dpp v42, v73 row_shl:4 row_mask:0xf bank_mask:0xf// 00000000501C: 7E5402FA FF010449
	v_cndmask_b32_e64 v252, v73, v41, s[44:45]                 // 000000005024: D10000FC 00B25349
	v_cndmask_b32_e64 v253, v42, v73, s[44:45]                 // 00000000502C: D10000FD 00B2932A
	v_or_b32_dpp v128, v136, v128 row_shr:8 row_mask:0xf bank_mask:0xf bound_ctrl:1// 000000005034: 290100FA FF091888
	v_or_b32_dpp v129, v137, v129 row_shr:8 row_mask:0xf bank_mask:0xf bound_ctrl:1// 00000000503C: 290302FA FF091889
	v_or_b32_dpp v130, v138, v130 row_shr:8 row_mask:0xf bank_mask:0xf bound_ctrl:1// 000000005044: 290504FA FF09188A
	v_or_b32_dpp v131, v139, v131 row_shr:8 row_mask:0xf bank_mask:0xf bound_ctrl:1// 00000000504C: 290706FA FF09188B
	v_or_b32_dpp v132, v140, v132 row_shr:8 row_mask:0xf bank_mask:0xf bound_ctrl:1// 000000005054: 290908FA FF09188C
	v_or_b32_dpp v133, v141, v133 row_shr:8 row_mask:0xf bank_mask:0xf bound_ctrl:1// 00000000505C: 290B0AFA FF09188D
	v_or_b32_dpp v134, v142, v134 row_shr:8 row_mask:0xf bank_mask:0xf bound_ctrl:1// 000000005064: 290D0CFA FF09188E
	v_or_b32_dpp v135, v143, v135 row_shr:8 row_mask:0xf bank_mask:0xf bound_ctrl:1// 00000000506C: 290F0EFA FF09188F
	v_mul_f32_e32 v128, v54, v128                              // 000000005074: 0B010136
	v_mul_f32_e32 v129, v54, v129                              // 000000005078: 0B030336
	v_mul_f32_e32 v130, v54, v130                              // 00000000507C: 0B050536
	v_mul_f32_e32 v131, v54, v131                              // 000000005080: 0B070736
	v_mul_f32_e32 v132, v54, v132                              // 000000005084: 0B090936
	v_mul_f32_e32 v133, v54, v133                              // 000000005088: 0B0B0B36
	v_mul_f32_e32 v134, v54, v134                              // 00000000508C: 0B0D0D36
	v_mul_f32_e32 v135, v54, v135                              // 000000005090: 0B0F0F36
	v_mul_f32_dpp v128, v248, v128 quad_perm:[0,0,0,0] row_mask:0xf bank_mask:0xf// 000000005094: 0B0100FA FF0000F8
	v_mul_f32_dpp v129, v248, v129 quad_perm:[1,1,1,1] row_mask:0xf bank_mask:0xf// 00000000509C: 0B0302FA FF0055F8
	v_mul_f32_dpp v130, v248, v130 quad_perm:[2,2,2,2] row_mask:0xf bank_mask:0xf// 0000000050A4: 0B0504FA FF00AAF8
	v_mul_f32_dpp v131, v248, v131 quad_perm:[3,3,3,3] row_mask:0xf bank_mask:0xf// 0000000050AC: 0B0706FA FF00FFF8
	v_mul_f32_dpp v132, v249, v132 quad_perm:[0,0,0,0] row_mask:0xf bank_mask:0xf// 0000000050B4: 0B0908FA FF0000F9
	v_mul_f32_dpp v133, v249, v133 quad_perm:[1,1,1,1] row_mask:0xf bank_mask:0xf// 0000000050BC: 0B0B0AFA FF0055F9
	v_mul_f32_dpp v134, v249, v134 quad_perm:[2,2,2,2] row_mask:0xf bank_mask:0xf// 0000000050C4: 0B0D0CFA FF00AAF9
	v_mul_f32_dpp v135, v249, v135 quad_perm:[3,3,3,3] row_mask:0xf bank_mask:0xf// 0000000050CC: 0B0F0EFA FF00FFF9
	s_and_b32 s60, s72, 0xff                                   // 0000000050D4: 863CFF48 000000FF
	v_mov_b32_e32 v79, s60                                     // 0000000050DC: 7E9E023C
	v_lshrrev_b32_e32 v240, 4, v0                              // 0000000050E0: 21E00084
	v_mul_i32_i24_e32 v240, 4, v240                            // 0000000050E4: 0DE1E084
	v_and_b32_e32 v41, 15, v0                                  // 0000000050E8: 2652008F
	v_lshrrev_b32_e32 v41, 3, v41                              // 0000000050EC: 20525283
	v_mul_i32_i24_e32 v41, 0x80, v41                           // 0000000050F0: 0C5252FF 00000080
	v_add_u32_e32 v240, v41, v240                              // 0000000050F8: 69E1E129
	s_mul_i32 s60, s7, 16                                      // 0000000050FC: 923C9007
	v_add_u32_e32 v240, s60, v240                              // 000000005100: 69E1E03C
	v_add_u32_e32 v241, 1, v240                                // 000000005104: 69E3E081
	v_add_u32_e32 v242, 2, v240                                // 000000005108: 69E5E082
	v_add_u32_e32 v243, 3, v240                                // 00000000510C: 69E7E083
	v_cmp_lt_u32_e64 s[40:41], v240, v79                       // 000000005110: D0C90028 00029FF0
	v_add_u32_e32 v240, 64, v240                               // 000000005118: 69E1E0C0
	s_nop 0                                                    // 00000000511C: BF800000
	v_cndmask_b32_e64 v128, v69, v128, s[40:41]                // 000000005120: D1000080 00A30145
	v_cmp_lt_u32_e64 s[40:41], v241, v79                       // 000000005128: D0C90028 00029FF1
	v_add_u32_e32 v241, 64, v241                               // 000000005130: 69E3E2C0
	s_nop 0                                                    // 000000005134: BF800000
	v_cndmask_b32_e64 v129, v69, v129, s[40:41]                // 000000005138: D1000081 00A30345
	v_cmp_lt_u32_e64 s[40:41], v242, v79                       // 000000005140: D0C90028 00029FF2
	v_add_u32_e32 v242, 64, v242                               // 000000005148: 69E5E4C0
	s_nop 0                                                    // 00000000514C: BF800000
	v_cndmask_b32_e64 v130, v69, v130, s[40:41]                // 000000005150: D1000082 00A30545
	v_cmp_lt_u32_e64 s[40:41], v243, v79                       // 000000005158: D0C90028 00029FF3
	v_add_u32_e32 v243, 64, v243                               // 000000005160: 69E7E6C0
	s_nop 0                                                    // 000000005164: BF800000
	v_cndmask_b32_e64 v131, v69, v131, s[40:41]                // 000000005168: D1000083 00A30745
	v_cmp_lt_u32_e64 s[40:41], v240, v79                       // 000000005170: D0C90028 00029FF0
	v_add_u32_e32 v240, 64, v240                               // 000000005178: 69E1E0C0
	s_nop 0                                                    // 00000000517C: BF800000
	v_cndmask_b32_e64 v132, v69, v132, s[40:41]                // 000000005180: D1000084 00A30945
	v_cmp_lt_u32_e64 s[40:41], v241, v79                       // 000000005188: D0C90028 00029FF1
	v_add_u32_e32 v241, 64, v241                               // 000000005190: 69E3E2C0
	s_nop 0                                                    // 000000005194: BF800000
	v_cndmask_b32_e64 v133, v69, v133, s[40:41]                // 000000005198: D1000085 00A30B45
	v_cmp_lt_u32_e64 s[40:41], v242, v79                       // 0000000051A0: D0C90028 00029FF2
	v_add_u32_e32 v242, 64, v242                               // 0000000051A8: 69E5E4C0
	s_nop 0                                                    // 0000000051AC: BF800000
	v_cndmask_b32_e64 v134, v69, v134, s[40:41]                // 0000000051B0: D1000086 00A30D45
	v_cmp_lt_u32_e64 s[40:41], v243, v79                       // 0000000051B8: D0C90028 00029FF3
	v_add_u32_e32 v243, 64, v243                               // 0000000051C0: 69E7E6C0
	s_nop 0                                                    // 0000000051C4: BF800000
	v_cndmask_b32_e64 v135, v69, v135, s[40:41]                // 0000000051C8: D1000087 00A30F45
	v_mov_b32_e32 v62, v128                                    // 0000000051D0: 7E7C0380
	v_max3_f32 v62, v128, v129, v62                            // 0000000051D4: D1D3003E 04FB0380
	v_max3_f32 v62, v130, v131, v62                            // 0000000051DC: D1D3003E 04FB0782
	v_max3_f32 v62, v132, v133, v62                            // 0000000051E4: D1D3003E 04FB0B84
	v_max3_f32 v62, v134, v135, v62                            // 0000000051EC: D1D3003E 04FB0F86
	ds_write_b32 v11, v62 offset:16896                         // 0000000051F4: D81A4200 00003E0B
	v_mul_u32_u24_dpp v41, v19, v68 row_newbcast:1 row_mask:0xf bank_mask:0xf// 0000000051FC: 105288FA FF015113
	v_mul_u32_u24_dpp v42, v19, v68 row_newbcast:5 row_mask:0xf bank_mask:0xf// 000000005204: 105488FA FF015513
	v_mul_u32_u24_dpp v43, v19, v68 row_newbcast:9 row_mask:0xf bank_mask:0xf// 00000000520C: 105688FA FF015913
	v_mul_u32_u24_dpp v44, v19, v68 row_newbcast:13 row_mask:0xf bank_mask:0xf// 000000005214: 105888FA FF015D13
	v_add_u32_e32 v33, v41, v7                                 // 00000000521C: 68420F29
	v_add_u32_e32 v34, v42, v7                                 // 000000005220: 68440F2A
	v_add_u32_e32 v35, v43, v7                                 // 000000005224: 68460F2B
	v_add_u32_e32 v36, v44, v7                                 // 000000005228: 68480F2C
	s_waitcnt lgkmcnt(0)                                       // 00000000522C: BF8CC07F
	s_barrier                                                  // 000000005230: BF8A0000
	ds_read_b32 v80, v10 offset:16896                          // 000000005234: D86C4200 5000000A
	ds_read_b32 v81, v10 offset:16960                          // 00000000523C: D86C4240 5100000A
	ds_read_b32 v82, v10 offset:17024                          // 000000005244: D86C4280 5200000A
	ds_read_b32 v83, v10 offset:17088                          // 00000000524C: D86C42C0 5300000A
	ds_read_b32 v84, v10 offset:17152                          // 000000005254: D86C4300 5400000A
	ds_read_b32 v85, v10 offset:17216                          // 00000000525C: D86C4340 5500000A
	ds_read_b32 v86, v10 offset:17280                          // 000000005264: D86C4380 5600000A
	ds_read_b32 v87, v10 offset:17344                          // 00000000526C: D86C43C0 5700000A
	ds_read_b32 v88, v10 offset:17408                          // 000000005274: D86C4400 5800000A
	ds_read_b32 v89, v10 offset:17472                          // 00000000527C: D86C4440 5900000A
	ds_read_b32 v90, v10 offset:17536                          // 000000005284: D86C4480 5A00000A
	ds_read_b32 v91, v10 offset:17600                          // 00000000528C: D86C44C0 5B00000A
	ds_read_b32 v92, v10 offset:17664                          // 000000005294: D86C4500 5C00000A
	ds_read_b32 v93, v10 offset:17728                          // 00000000529C: D86C4540 5D00000A
	ds_read_b32 v94, v10 offset:17792                          // 0000000052A4: D86C4580 5E00000A
	ds_read_b32 v95, v10 offset:17856                          // 0000000052AC: D86C45C0 5F00000A
	v_mul_f32_e32 v224, v63, v224                              // 0000000052B4: 0BC1C13F
	v_mul_f32_e32 v225, v63, v225                              // 0000000052B8: 0BC3C33F
	v_mul_f32_e32 v226, v63, v226                              // 0000000052BC: 0BC5C53F
	v_mul_f32_e32 v227, v63, v227                              // 0000000052C0: 0BC7C73F
	v_or_b32_dpp v192, v196, v192 row_shr:8 row_mask:0xf bank_mask:0xf bound_ctrl:1// 0000000052C4: 298180FA FF0918C4
	v_or_b32_dpp v193, v197, v193 row_shr:8 row_mask:0xf bank_mask:0xf bound_ctrl:1// 0000000052CC: 298382FA FF0918C5
	v_or_b32_dpp v194, v198, v194 row_shr:8 row_mask:0xf bank_mask:0xf bound_ctrl:1// 0000000052D4: 298584FA FF0918C6
	v_or_b32_dpp v195, v199, v195 row_shr:8 row_mask:0xf bank_mask:0xf bound_ctrl:1// 0000000052DC: 298786FA FF0918C7
	s_waitcnt lgkmcnt(0)                                       // 0000000052E4: BF8CC07F
	v_max3_f32 v62, v80, v81, v62                              // 0000000052E8: D1D3003E 04FAA350
	v_max3_f32 v62, v82, v83, v62                              // 0000000052F0: D1D3003E 04FAA752
	v_max3_f32 v62, v84, v85, v62                              // 0000000052F8: D1D3003E 04FAAB54
	v_max3_f32 v62, v86, v87, v62                              // 000000005300: D1D3003E 04FAAF56
	v_max3_f32 v62, v88, v89, v62                              // 000000005308: D1D3003E 04FAB358
	v_max3_f32 v62, v90, v91, v62                              // 000000005310: D1D3003E 04FAB75A
	v_max3_f32 v62, v92, v93, v62                              // 000000005318: D1D3003E 04FABB5C
	v_max3_f32 v62, v94, v95, v62                              // 000000005320: D1D3003E 04FABF5E
	v_cmp_eq_u32_e64 s[40:41], v69, v14                        // 000000005328: D0CA0028 00021D45
	s_nop 1                                                    // 000000005330: BF800001
	v_mov_b32_dpp v41, v62 row_ror:8 row_mask:0xf bank_mask:0xf// 000000005334: 7E5202FA FF01283E
	v_max_f32_e32 v62, v62, v41                                // 00000000533C: 167C533E
	v_max_f32_e32 v18, v62, v14                                // 000000005340: 16241D3E
	v_mul_f32_e32 v67, s64, v18                                // 000000005344: 0A862440
	v_fma_f32 v128, v128, s64, -v67                            // 000000005348: D1CB0080 850C8180
	v_fma_f32 v129, v129, s64, -v67                            // 000000005350: D1CB0081 850C8181
	v_fma_f32 v130, v130, s64, -v67                            // 000000005358: D1CB0082 850C8182
	v_fma_f32 v131, v131, s64, -v67                            // 000000005360: D1CB0083 850C8183
	v_fma_f32 v132, v132, s64, -v67                            // 000000005368: D1CB0084 850C8184
	v_fma_f32 v133, v133, s64, -v67                            // 000000005370: D1CB0085 850C8185
	v_fma_f32 v134, v134, s64, -v67                            // 000000005378: D1CB0086 850C8186
	v_fma_f32 v135, v135, s64, -v67                            // 000000005380: D1CB0087 850C8187
	v_exp_f32_e32 v128, v128                                   // 000000005388: 7F004180
	v_exp_f32_e32 v129, v129                                   // 00000000538C: 7F024181
	v_exp_f32_e32 v130, v130                                   // 000000005390: 7F044182
	v_exp_f32_e32 v131, v131                                   // 000000005394: 7F064183
	v_exp_f32_e32 v132, v132                                   // 000000005398: 7F084184
	v_exp_f32_e32 v133, v133                                   // 00000000539C: 7F0A4185
	v_exp_f32_e32 v134, v134                                   // 0000000053A0: 7F0C4186
	v_exp_f32_e32 v135, v135                                   // 0000000053A4: 7F0E4187
	v_mul_f32_dpp v240, v252, v128 quad_perm:[0,0,0,0] row_mask:0xf bank_mask:0xf// 0000000053A8: 0BE100FA FF0000FC
	v_mul_f32_dpp v241, v252, v129 quad_perm:[1,1,1,1] row_mask:0xf bank_mask:0xf// 0000000053B0: 0BE302FA FF0055FC
	v_mul_f32_dpp v242, v252, v130 quad_perm:[2,2,2,2] row_mask:0xf bank_mask:0xf// 0000000053B8: 0BE504FA FF00AAFC
	v_mul_f32_dpp v243, v252, v131 quad_perm:[3,3,3,3] row_mask:0xf bank_mask:0xf// 0000000053C0: 0BE706FA FF00FFFC
	v_mul_f32_dpp v244, v253, v132 quad_perm:[0,0,0,0] row_mask:0xf bank_mask:0xf// 0000000053C8: 0BE908FA FF0000FD
	v_mul_f32_dpp v245, v253, v133 quad_perm:[1,1,1,1] row_mask:0xf bank_mask:0xf// 0000000053D0: 0BEB0AFA FF0055FD
	v_mul_f32_dpp v246, v253, v134 quad_perm:[2,2,2,2] row_mask:0xf bank_mask:0xf// 0000000053D8: 0BED0CFA FF00AAFD
	v_mul_f32_dpp v247, v253, v135 quad_perm:[3,3,3,3] row_mask:0xf bank_mask:0xf// 0000000053E0: 0BEF0EFA FF00FFFD
	v_mov_b32_e32 v62, 0x358637bd                              // 0000000053E8: 7E7C02FF 358637BD
	v_max3_f32 v62, |v240|, |v241|, v62                        // 0000000053F0: D1D3033E 04FBE3F0
	v_max3_f32 v62, |v242|, |v243|, v62                        // 0000000053F8: D1D3033E 04FBE7F2
	v_max3_f32 v62, |v244|, |v245|, v62                        // 000000005400: D1D3033E 04FBEBF4
	v_max3_f32 v62, |v246|, |v247|, v62                        // 000000005408: D1D3033E 04FBEFF6
	ds_write_b32 v11, v62 offset:20992                         // 000000005410: D81A5200 00003E0B
	v_sub_f32_e32 v63, v14, v18                                // 000000005418: 047E250E
	v_cndmask_b32_e64 v63, v63, 0, s[40:41]                    // 00000000541C: D100003F 00A1013F
	v_mov_b32_e32 v14, v18                                     // 000000005424: 7E1C0312
	v_mul_f32_e32 v63, s64, v63                                // 000000005428: 0A7E7E40
	v_exp_f32_e32 v63, v63                                     // 00000000542C: 7E7E413F
	s_waitcnt lgkmcnt(0)                                       // 000000005430: BF8CC07F
	s_barrier                                                  // 000000005434: BF8A0000
	ds_read_b32 v80, v10 offset:20992                          // 000000005438: D86C5200 5000000A
	ds_read_b32 v81, v10 offset:21056                          // 000000005440: D86C5240 5100000A
	ds_read_b32 v82, v10 offset:21120                          // 000000005448: D86C5280 5200000A
	ds_read_b32 v83, v10 offset:21184                          // 000000005450: D86C52C0 5300000A
	ds_read_b32 v84, v10 offset:21248                          // 000000005458: D86C5300 5400000A
	ds_read_b32 v85, v10 offset:21312                          // 000000005460: D86C5340 5500000A
	ds_read_b32 v86, v10 offset:21376                          // 000000005468: D86C5380 5600000A
	ds_read_b32 v87, v10 offset:21440                          // 000000005470: D86C53C0 5700000A
	ds_read_b32 v88, v10 offset:21504                          // 000000005478: D86C5400 5800000A
	ds_read_b32 v89, v10 offset:21568                          // 000000005480: D86C5440 5900000A
	ds_read_b32 v90, v10 offset:21632                          // 000000005488: D86C5480 5A00000A
	ds_read_b32 v91, v10 offset:21696                          // 000000005490: D86C54C0 5B00000A
	ds_read_b32 v92, v10 offset:21760                          // 000000005498: D86C5500 5C00000A
	ds_read_b32 v93, v10 offset:21824                          // 0000000054A0: D86C5540 5D00000A
	ds_read_b32 v94, v10 offset:21888                          // 0000000054A8: D86C5580 5E00000A
	ds_read_b32 v95, v10 offset:21952                          // 0000000054B0: D86C55C0 5F00000A
	v_mul_f32_e32 v47, v63, v47                                // 0000000054B8: 0A5E5F3F
	v_mov_b32_e32 v51, v128                                    // 0000000054BC: 7E660380
	v_add_f32_e32 v51, v129, v51                               // 0000000054C0: 02666781
	v_add_f32_e32 v51, v130, v51                               // 0000000054C4: 02666782
	v_add_f32_e32 v51, v131, v51                               // 0000000054C8: 02666783
	v_add_f32_e32 v51, v132, v51                               // 0000000054CC: 02666784
	v_add_f32_e32 v51, v133, v51                               // 0000000054D0: 02666785
	v_add_f32_e32 v51, v134, v51                               // 0000000054D4: 02666786
	v_add_f32_e32 v51, v135, v51                               // 0000000054D8: 02666787
	v_add_f32_e32 v47, v51, v47                                // 0000000054DC: 025E5F33
	s_waitcnt lgkmcnt(0)                                       // 0000000054E0: BF8CC07F
	v_max3_f32 v62, |v80|, |v81|, v62                          // 0000000054E4: D1D3033E 04FAA350
	v_max3_f32 v62, |v82|, |v83|, v62                          // 0000000054EC: D1D3033E 04FAA752
	v_max3_f32 v62, |v84|, |v85|, v62                          // 0000000054F4: D1D3033E 04FAAB54
	v_max3_f32 v62, |v86|, |v87|, v62                          // 0000000054FC: D1D3033E 04FAAF56
	v_max3_f32 v62, |v88|, |v89|, v62                          // 000000005504: D1D3033E 04FAB358
	v_max3_f32 v62, |v90|, |v91|, v62                          // 00000000550C: D1D3033E 04FAB75A
	v_max3_f32 v62, |v92|, |v93|, v62                          // 000000005514: D1D3033E 04FABB5C
	v_max3_f32 v62, |v94|, |v95|, v62                          // 00000000551C: D1D3033E 04FABF5E
	s_nop 2                                                    // 000000005524: BF800002
	v_mov_b32_dpp v41, v62 row_ror:8 row_mask:0xf bank_mask:0xf// 000000005528: 7E5202FA FF01283E
	v_max_f32_e32 v62, v62, v41                                // 000000005530: 167C533E
	v_rcp_f32_e32 v62, v62                                     // 000000005534: 7E7C453E
	s_nop 1                                                    // 000000005538: BF800001
	v_mul_f32_e32 v62, 0x43700000, v62                         // 00000000553C: 0A7C7CFF 43700000
	v_mul_f32_e32 v128, v62, v240                              // 000000005544: 0B01E13E
	v_mul_f32_e32 v129, v62, v241                              // 000000005548: 0B03E33E
	v_mul_f32_e32 v130, v62, v242                              // 00000000554C: 0B05E53E
	v_mul_f32_e32 v131, v62, v243                              // 000000005550: 0B07E73E
	v_mul_f32_e32 v132, v62, v244                              // 000000005554: 0B09E93E
	v_mul_f32_e32 v133, v62, v245                              // 000000005558: 0B0BEB3E
	v_mul_f32_e32 v134, v62, v246                              // 00000000555C: 0B0DED3E
	v_mul_f32_e32 v135, v62, v247                              // 000000005560: 0B0FEF3E
	v_cvt_pk_fp8_f32 v128, v128, v129                          // 000000005564: D2A20080 00030380
	v_cvt_pk_fp8_f32 v128, v130, v131 op_sel:[0,0,1]           // 00000000556C: D2A24080 00030782
	v_cvt_pk_fp8_f32 v129, v132, v133                          // 000000005574: D2A20081 00030B84
	v_cvt_pk_fp8_f32 v129, v134, v135 op_sel:[0,0,1]           // 00000000557C: D2A24081 00030F86
	ds_write_b32 v13, v128 offset:25088                        // 000000005584: D81A6200 0000800D
	ds_write_b32 v13, v129 offset:26112                        // 00000000558C: D81A6600 0000810D
	v_mul_f32_e32 v192, v58, v192                              // 000000005594: 0B81813A
	v_mul_f32_e32 v193, v58, v193                              // 000000005598: 0B83833A
	v_mul_f32_e32 v194, v58, v194                              // 00000000559C: 0B85853A
	v_mul_f32_e32 v195, v58, v195                              // 0000000055A0: 0B87873A
	v_rcp_f32_e32 v58, v62                                     // 0000000055A4: 7E74453E
	s_waitcnt lgkmcnt(0)                                       // 0000000055A8: BF8CC07F
	s_barrier                                                  // 0000000055AC: BF8A0000
	ds_read_b64 v[128:129], v12 offset:25088                   // 0000000055B0: D8EC6200 8000000C
	ds_read_b64 v[130:131], v12 offset:25216                   // 0000000055B8: D8EC6280 8200000C
	ds_read_b64 v[132:133], v12 offset:26112                   // 0000000055C0: D8EC6600 8400000C
	ds_read_b64 v[134:135], v12 offset:26240                   // 0000000055C8: D8EC6680 8600000C
	v_add_f32_e32 v224, v224, v192                             // 0000000055D0: 03C181E0
	v_add_f32_e32 v225, v225, v193                             // 0000000055D4: 03C383E1
	v_add_f32_e32 v226, v226, v194                             // 0000000055D8: 03C585E2
	v_add_f32_e32 v227, v227, v195                             // 0000000055DC: 03C787E3
	s_waitcnt lgkmcnt(3)                                       // 0000000055E0: BF8CC37F
	v_mov_b32_dpp v136, v128 row_shl:8 row_mask:0xf bank_mask:0xf bound_ctrl:1// 0000000055E4: 7F1002FA FF090880
	v_and_b32_e32 v128, v128, v9                               // 0000000055EC: 27001380
	v_mov_b32_dpp v137, v129 row_shl:8 row_mask:0xf bank_mask:0xf bound_ctrl:1// 0000000055F0: 7F1202FA FF090881
	v_and_b32_e32 v129, v129, v9                               // 0000000055F8: 27021381
	s_waitcnt lgkmcnt(2)                                       // 0000000055FC: BF8CC27F
	v_mov_b32_dpp v138, v130 row_shl:8 row_mask:0xf bank_mask:0xf bound_ctrl:1// 000000005600: 7F1402FA FF090882
	v_and_b32_e32 v130, v130, v9                               // 000000005608: 27041382
	v_mov_b32_dpp v139, v131 row_shl:8 row_mask:0xf bank_mask:0xf bound_ctrl:1// 00000000560C: 7F1602FA FF090883
	v_and_b32_e32 v131, v131, v9                               // 000000005614: 27061383
	s_waitcnt lgkmcnt(1)                                       // 000000005618: BF8CC17F
	v_mov_b32_dpp v140, v132 row_shl:8 row_mask:0xf bank_mask:0xf bound_ctrl:1// 00000000561C: 7F1802FA FF090884
	v_and_b32_e32 v132, v132, v9                               // 000000005624: 27081384
	v_mov_b32_dpp v141, v133 row_shl:8 row_mask:0xf bank_mask:0xf bound_ctrl:1// 000000005628: 7F1A02FA FF090885
	v_and_b32_e32 v133, v133, v9                               // 000000005630: 270A1385
	s_waitcnt lgkmcnt(0)                                       // 000000005634: BF8CC07F
	v_mov_b32_dpp v142, v134 row_shl:8 row_mask:0xf bank_mask:0xf bound_ctrl:1// 000000005638: 7F1C02FA FF090886
	v_and_b32_e32 v134, v134, v9                               // 000000005640: 270C1386
	v_mov_b32_dpp v143, v135 row_shl:8 row_mask:0xf bank_mask:0xf bound_ctrl:1// 000000005644: 7F1E02FA FF090887
	v_and_b32_e32 v135, v135, v9                               // 00000000564C: 270E1387
	s_waitcnt vmcnt(0)                                         // 000000005650: BF8C0F70
	s_barrier                                                  // 000000005654: BF8A0000
	v_mfma_f32_16x16x32_fp8_fp8 v[192:195], a[96:97], v[128:129], 0// 000000005658: D3F300C0 0A030160
	v_mfma_f32_16x16x32_fp8_fp8 v[192:195], a[98:99], v[130:131], v[192:195]// 000000005660: D3F300C0 0F030562
	v_mfma_f32_16x16x32_fp8_fp8 v[192:195], a[100:101], v[132:133], v[192:195]// 000000005668: D3F300C0 0F030964
	v_mfma_f32_16x16x32_fp8_fp8 v[192:195], a[102:103], v[134:135], v[192:195]// 000000005670: D3F300C0 0F030D66
	v_mfma_f32_16x16x32_fp8_fp8 v[192:195], a[104:105], v[136:137], v[192:195]// 000000005678: D3F300C0 0F031168
	v_mfma_f32_16x16x32_fp8_fp8 v[192:195], a[106:107], v[138:139], v[192:195]// 000000005680: D3F300C0 0F03156A
	v_mfma_f32_16x16x32_fp8_fp8 v[192:195], a[108:109], v[140:141], v[192:195]// 000000005688: D3F300C0 0F03196C
	v_mfma_f32_16x16x32_fp8_fp8 v[192:195], a[110:111], v[142:143], v[192:195]// 000000005690: D3F300C0 0F031D6E
	v_mfma_f32_16x16x32_fp8_fp8 v[196:199], a[112:113], v[128:129], 0// 000000005698: D3F300C4 0A030170
	v_mfma_f32_16x16x32_fp8_fp8 v[196:199], a[114:115], v[130:131], v[196:199]// 0000000056A0: D3F300C4 0F130572
	v_mfma_f32_16x16x32_fp8_fp8 v[196:199], a[116:117], v[132:133], v[196:199]// 0000000056A8: D3F300C4 0F130974
	v_mfma_f32_16x16x32_fp8_fp8 v[196:199], a[118:119], v[134:135], v[196:199]// 0000000056B0: D3F300C4 0F130D76
	v_mfma_f32_16x16x32_fp8_fp8 v[196:199], a[120:121], v[136:137], v[196:199]// 0000000056B8: D3F300C4 0F131178
	v_mfma_f32_16x16x32_fp8_fp8 v[196:199], a[122:123], v[138:139], v[196:199]// 0000000056C0: D3F300C4 0F13157A
	v_mfma_f32_16x16x32_fp8_fp8 v[196:199], a[124:125], v[140:141], v[196:199]// 0000000056C8: D3F300C4 0F13197C
	v_mfma_f32_16x16x32_fp8_fp8 v[196:199], a[126:127], v[142:143], v[196:199]// 0000000056D0: D3F300C4 0F131D7E
	s_nop 4                                                    // 0000000056D8: BF800004
	s_branch label_0D38                                        // 0000000056DC: BF820000

00000000000056e0 <label_0D38>:
	v_mul_f32_e32 v224, v63, v224                              // 0000000056E0: 0BC1C13F
	v_mul_f32_e32 v225, v63, v225                              // 0000000056E4: 0BC3C33F
	v_mul_f32_e32 v226, v63, v226                              // 0000000056E8: 0BC5C53F
	v_mul_f32_e32 v227, v63, v227                              // 0000000056EC: 0BC7C73F
	v_or_b32_dpp v192, v196, v192 row_shr:8 row_mask:0xf bank_mask:0xf bound_ctrl:1// 0000000056F0: 298180FA FF0918C4
	v_or_b32_dpp v193, v197, v193 row_shr:8 row_mask:0xf bank_mask:0xf bound_ctrl:1// 0000000056F8: 298382FA FF0918C5
	v_or_b32_dpp v194, v198, v194 row_shr:8 row_mask:0xf bank_mask:0xf bound_ctrl:1// 000000005700: 298584FA FF0918C6
	v_or_b32_dpp v195, v199, v195 row_shr:8 row_mask:0xf bank_mask:0xf bound_ctrl:1// 000000005708: 298786FA FF0918C7
	v_mul_f32_e32 v192, v58, v192                              // 000000005710: 0B81813A
	v_mul_f32_e32 v193, v58, v193                              // 000000005714: 0B83833A
	v_mul_f32_e32 v194, v58, v194                              // 000000005718: 0B85853A
	v_mul_f32_e32 v195, v58, v195                              // 00000000571C: 0B87873A
	v_add_f32_e32 v224, v224, v192                             // 000000005720: 03C181E0
	v_add_f32_e32 v225, v225, v193                             // 000000005724: 03C383E1
	v_add_f32_e32 v226, v226, v194                             // 000000005728: 03C585E2
	v_add_f32_e32 v227, v227, v195                             // 00000000572C: 03C787E3
	ds_write_b32 v11, v47 offset:16896                         // 000000005730: D81A4200 00002F0B
	s_waitcnt lgkmcnt(0)                                       // 000000005738: BF8CC07F
	s_barrier                                                  // 00000000573C: BF8A0000
	ds_read_b32 v80, v10 offset:16896                          // 000000005740: D86C4200 5000000A
	ds_read_b32 v81, v10 offset:16960                          // 000000005748: D86C4240 5100000A
	ds_read_b32 v82, v10 offset:17024                          // 000000005750: D86C4280 5200000A
	ds_read_b32 v83, v10 offset:17088                          // 000000005758: D86C42C0 5300000A
	ds_read_b32 v84, v10 offset:17152                          // 000000005760: D86C4300 5400000A
	ds_read_b32 v85, v10 offset:17216                          // 000000005768: D86C4340 5500000A
	ds_read_b32 v86, v10 offset:17280                          // 000000005770: D86C4380 5600000A
	ds_read_b32 v87, v10 offset:17344                          // 000000005778: D86C43C0 5700000A
	ds_read_b32 v88, v10 offset:17408                          // 000000005780: D86C4400 5800000A
	ds_read_b32 v89, v10 offset:17472                          // 000000005788: D86C4440 5900000A
	ds_read_b32 v90, v10 offset:17536                          // 000000005790: D86C4480 5A00000A
	ds_read_b32 v91, v10 offset:17600                          // 000000005798: D86C44C0 5B00000A
	ds_read_b32 v92, v10 offset:17664                          // 0000000057A0: D86C4500 5C00000A
	ds_read_b32 v93, v10 offset:17728                          // 0000000057A8: D86C4540 5D00000A
	ds_read_b32 v94, v10 offset:17792                          // 0000000057B0: D86C4580 5E00000A
	ds_read_b32 v95, v10 offset:17856                          // 0000000057B8: D86C45C0 5F00000A
	s_waitcnt lgkmcnt(0)                                       // 0000000057C0: BF8CC07F
	v_mov_b32_e32 v47, 0                                       // 0000000057C4: 7E5E0280
	v_add_f32_e32 v47, v80, v47                                // 0000000057C8: 025E5F50
	v_add_f32_e32 v47, v81, v47                                // 0000000057CC: 025E5F51
	v_add_f32_e32 v47, v82, v47                                // 0000000057D0: 025E5F52
	v_add_f32_e32 v47, v83, v47                                // 0000000057D4: 025E5F53
	v_add_f32_e32 v47, v84, v47                                // 0000000057D8: 025E5F54
	v_add_f32_e32 v47, v85, v47                                // 0000000057DC: 025E5F55
	v_add_f32_e32 v47, v86, v47                                // 0000000057E0: 025E5F56
	v_add_f32_e32 v47, v87, v47                                // 0000000057E4: 025E5F57
	v_add_f32_e32 v47, v88, v47                                // 0000000057E8: 025E5F58
	v_add_f32_e32 v47, v89, v47                                // 0000000057EC: 025E5F59
	v_add_f32_e32 v47, v90, v47                                // 0000000057F0: 025E5F5A
	v_add_f32_e32 v47, v91, v47                                // 0000000057F4: 025E5F5B
	v_add_f32_e32 v47, v92, v47                                // 0000000057F8: 025E5F5C
	v_add_f32_e32 v47, v93, v47                                // 0000000057FC: 025E5F5D
	v_add_f32_e32 v47, v94, v47                                // 000000005800: 025E5F5E
	v_add_f32_e32 v47, v95, v47                                // 000000005804: 025E5F5F
	s_nop 1                                                    // 000000005808: BF800001
	v_mov_b32_dpp v41, v47 row_ror:8 row_mask:0xf bank_mask:0xf// 00000000580C: 7E5202FA FF01282F
	v_add_f32_e32 v47, v47, v41                                // 000000005814: 025E532F
	v_rcp_f32_e32 v47, v47                                     // 000000005818: 7E5E452F
	s_nop 1                                                    // 00000000581C: BF800001
	v_mul_f32_e32 v224, v47, v224                              // 000000005820: 0BC1C12F
	v_mul_f32_e32 v225, v47, v225                              // 000000005824: 0BC3C32F
	v_mul_f32_e32 v226, v47, v226                              // 000000005828: 0BC5C52F
	v_mul_f32_e32 v227, v47, v227                              // 00000000582C: 0BC7C72F
	v_cmp_u_f32_e64 s[40:41], v224, v224                       // 000000005830: D0480028 0003C1E0
	v_add3_u32 v21, v224, v24, 1                               // 000000005838: D1FF0015 020631E0
	v_cndmask_b32_e64 v41, v21, v23, s[40:41]                  // 000000005840: D1000029 00A22F15
	v_cmp_u_f32_e64 s[40:41], v225, v225                       // 000000005848: D0480028 0003C3E1
	v_add3_u32 v21, v225, v24, 1                               // 000000005850: D1FF0015 020631E1
	v_cndmask_b32_e64 v42, v21, v23, s[40:41]                  // 000000005858: D100002A 00A22F15
	v_perm_b32 v224, v42, v41, s52                             // 000000005860: D1ED00E0 00D2532A
	v_cmp_u_f32_e64 s[40:41], v226, v226                       // 000000005868: D0480028 0003C5E2
	v_add3_u32 v21, v226, v24, 1                               // 000000005870: D1FF0015 020631E2
	v_cndmask_b32_e64 v41, v21, v23, s[40:41]                  // 000000005878: D1000029 00A22F15
	v_cmp_u_f32_e64 s[40:41], v227, v227                       // 000000005880: D0480028 0003C7E3
	v_add3_u32 v21, v227, v24, 1                               // 000000005888: D1FF0015 020631E3
	v_cndmask_b32_e64 v42, v21, v23, s[40:41]                  // 000000005890: D100002A 00A22F15
	v_perm_b32 v225, v42, v41, s52                             // 000000005898: D1ED00E1 00D2532A
	s_nop 1                                                    // 0000000058A0: BF800001
	v_mov_b32_dpp v226, v224 row_shl:8 row_mask:0xf bank_mask:0xf bound_ctrl:1// 0000000058A4: 7FC402FA FF0908E0
	v_and_b32_e32 v224, v224, v9                               // 0000000058AC: 27C013E0
	v_mov_b32_dpp v227, v225 row_shl:8 row_mask:0xf bank_mask:0xf bound_ctrl:1// 0000000058B0: 7FC602FA FF0908E1
	v_and_b32_e32 v225, v225, v9                               // 0000000058B8: 27C213E1
	v_lshrrev_b32_e32 v41, 4, v0                               // 0000000058BC: 20520084
	v_mul_i32_i24_e32 v5, 34, v41                              // 0000000058C0: 0C0A52A2
	v_and_b32_e32 v41, 15, v0                                  // 0000000058C4: 2652008F
	v_mul_i32_i24_e32 v42, 2, v41                              // 0000000058C8: 0C545282
	v_add_u32_e32 v5, v42, v5                                  // 0000000058CC: 680A0B2A
	s_mul_i32 s60, s7, 0x88                                    // 0000000058D0: 923CFF07 00000088
	v_add_u32_e32 v5, s60, v5                                  // 0000000058D8: 680A0A3C
	v_lshlrev_b32_e32 v5, 2, v5                                // 0000000058DC: 240A0A82
	ds_write_b64 v5, v[224:225] offset:41472                   // 0000000058E0: D89AA200 0000E005
	ds_write_b64 v5, v[226:227] offset:43648                   // 0000000058E8: D89AAA80 0000E205
	v_lshrrev_b32_e32 v41, 1, v0                               // 0000000058F0: 20520081
	v_mul_i32_i24_e32 v5, 34, v41                              // 0000000058F4: 0C0A52A2
	v_and_b32_e32 v42, 1, v0                                   // 0000000058F8: 26540081
	v_add_u32_e32 v5, v42, v5                                  // 0000000058FC: 680A0B2A
	s_mul_i32 s60, s7, 2                                       // 000000005900: 923C8207
	v_add_u32_e32 v5, s60, v5                                  // 000000005904: 680A0A3C
	v_lshlrev_b32_e32 v5, 2, v5                                // 000000005908: 240A0A82
	s_waitcnt lgkmcnt(0)                                       // 00000000590C: BF8CC07F
	s_barrier                                                  // 000000005910: BF8A0000
	ds_read_b32 v224, v5 offset:41472                          // 000000005914: D86CA200 E0000005
	ds_read_b32 v225, v5 offset:41504                          // 00000000591C: D86CA220 E1000005
	s_waitcnt lgkmcnt(0)                                       // 000000005924: BF8CC07F
	buffer_store_dword v224, v8, s[8:11], 0 offen              // 000000005928: E0701000 8002E008
	buffer_store_dword v225, v8, s[8:11], 0 offen offset:1024  // 000000005930: E0701400 8002E108
	s_mul_i32 s60, 0x100, s77                                  // 000000005938: 923C4DFF 00000100
	s_add_u32 s8, s60, s8                                      // 000000005940: 8008083C
	s_addc_u32 s9, 0, s9                                       // 000000005944: 82090980
	s_branch label_3E2A                                        // 000000005948: BF823057

000000000000594c <label_0DD3>:
	s_mul_i32 s60, s3, s65                                     // 00000000594C: 923C4103
	s_mul_i32 s60, s60, 4                                      // 000000005950: 923C843C
	s_add_u32 s24, s60, s24                                    // 000000005954: 8018183C
	s_addc_u32 s25, 0, s25                                     // 000000005958: 82191980
	s_mov_b32 s56, 64                                          // 00000000595C: BEB800C0
	s_add_u32 s73, s72, 15                                     // 000000005960: 80498F48
	s_lshr_b32 s73, s73, 4                                     // 000000005964: 8F498449
	s_mul_i32 s60, s73, 4                                      // 000000005968: 923C8449
	s_mov_b32 s26, s60                                         // 00000000596C: BE9A003C
	v_and_b32_e32 v42, 3, v0                                   // 000000005970: 26540083
	v_cmp_eq_u32_e64 s[60:61], 0, v42                          // 000000005974: D0CA003C 00025480
	v_and_b32_e32 v41, 12, v0                                  // 00000000597C: 2652008C
	v_add_u32_e32 v1, s7, v41                                  // 000000005980: 68025207
	v_cndmask_b32_e64 v1, 0, v1, s[60:61]                      // 000000005984: D1000001 00F20280
	v_and_b32_e32 v42, 3, v0                                   // 00000000598C: 26540083
	v_cmp_eq_u32_e64 s[60:61], 1, v42                          // 000000005990: D0CA003C 00025481
	v_lshrrev_b32_e32 v41, 4, v0                               // 000000005998: 20520084
	v_and_b32_e32 v42, 12, v0                                  // 00000000599C: 2654008C
	v_add_u32_e32 v41, v42, v41                                // 0000000059A0: 6852532A
	v_cndmask_b32_e64 v41, 0, v41, s[60:61]                    // 0000000059A4: D1000029 00F25280
	v_add_u32_e32 v1, v1, v41                                  // 0000000059AC: 68025301
	v_lshlrev_b32_e32 v1, 2, v1                                // 0000000059B0: 24020282
	buffer_load_dword v19, v1, s[24:27], 0 offen               // 0000000059B4: E0501000 80061301
	v_add_u32_e32 v1, s56, v1                                  // 0000000059BC: 68020238
	buffer_load_dword v20, v1, s[24:27], 0 offen               // 0000000059C0: E0501000 80061401
	s_cmp_le_u32 s73, 32                                       // 0000000059C8: BF0BA049
	s_cselect_b32 s56, 0, s56                                  // 0000000059CC: 85383880
	s_mul_i32 s60, s2, s67                                     // 0000000059D0: 923C4302
	s_mul_i32 s61, s84, s74                                    // 0000000059D4: 923D4A54
	s_add_u32 s60, s60, s61                                    // 0000000059D8: 803C3D3C
	s_add_u32 s12, s60, s12                                    // 0000000059DC: 800C0C3C
	s_addc_u32 s13, 0, s13                                     // 0000000059E0: 820D0D80
	s_mul_i32 s60, s7, 0x108                                   // 0000000059E4: 923CFF07 00000108
	s_add_u32 m0, 0, s60                                       // 0000000059EC: 807C3C80
	s_mul_i32 s60, s7, 0x100                                   // 0000000059F0: 923CFF07 00000100
	v_lshlrev_b32_e32 v41, 2, v0                               // 0000000059F8: 24520082
	v_add_u32_e64 v41, v41, s60                                // 0000000059FC: D1340029 00007929
	v_add_u32_e32 v42, 0x400, v41                              // 000000005A04: 685452FF 00000400
	buffer_load_dword v41, s[12:15], 0 offen lds               // 000000005A0C: E0511000 80030029
	s_mul_i32 s60, 4, 0x108                                    // 000000005A14: 923CFF84 00000108
	s_add_u32 m0, m0, s60                                      // 000000005A1C: 807C3C7C
	buffer_load_dword v42, s[12:15], 0 offen lds               // 000000005A20: E0511000 8003002A
	s_mul_i32 s60, 4, 0x108                                    // 000000005A28: 923CFF84 00000108
	s_add_u32 m0, m0, s60                                      // 000000005A30: 807C3C7C
	s_add_u32 s12, s74, s12                                    // 000000005A34: 800C0C4A
	s_addc_u32 s13, 0, s13                                     // 000000005A38: 820D0D80
	buffer_load_dword v41, s[12:15], 0 offen lds               // 000000005A3C: E0511000 80030029
	s_mul_i32 s60, 4, 0x108                                    // 000000005A44: 923CFF84 00000108
	s_add_u32 m0, m0, s60                                      // 000000005A4C: 807C3C7C
	buffer_load_dword v42, s[12:15], 0 offen lds               // 000000005A50: E0511000 8003002A
	s_mul_i32 s60, 4, 0x108                                    // 000000005A58: 923CFF84 00000108
	s_add_u32 m0, m0, s60                                      // 000000005A60: 807C3C7C
	v_lshrrev_b32_e32 v41, 4, v0                               // 000000005A64: 20520084
	v_lshlrev_b32_e32 v41, 2, v41                              // 000000005A68: 24525282
	v_and_b32_e32 v42, 3, v0                                   // 000000005A6C: 26540083
	v_add_u32_e32 v41, v42, v41                                // 000000005A70: 6852532A
	v_lshlrev_b32_e32 v74, 2, v41                              // 000000005A74: 24945282
	v_mov_b32_e32 v75, v74                                     // 000000005A78: 7E96034A
	s_mul_i32 s60, s2, 64                                      // 000000005A7C: 923CC002
	s_add_u32 s32, s60, s32                                    // 000000005A80: 8020203C
	s_addc_u32 s33, 0, s33                                     // 000000005A84: 82212180
	s_add_u32 s36, s60, s36                                    // 000000005A88: 8024243C
	s_addc_u32 s37, 0, s37                                     // 000000005A8C: 82252580
	s_mul_i32 s60, s2, s76                                     // 000000005A90: 923C4C02
	s_mul_i32 s61, s84, s75                                    // 000000005A94: 923D4B54
	s_add_u32 s60, s60, s61                                    // 000000005A98: 803C3D3C
	s_add_u32 s8, s60, s8                                      // 000000005A9C: 8008083C
	s_addc_u32 s9, 0, s9                                       // 000000005AA0: 82090980
	s_mov_b32 s70, 0                                           // 000000005AA4: BEC60080
	s_and_b32 s71, s72, 0xffffff00                             // 000000005AA8: 8647FF48 FFFFFF00
	s_mov_b32 s42, 0xff00ff00                                  // 000000005AB0: BEAA00FF FF00FF00
	s_mov_b32 s43, 0xff00ff00                                  // 000000005AB8: BEAB00FF FF00FF00
	s_mov_b32 s44, 0xf0f0f0f0                                  // 000000005AC0: BEAC00FF F0F0F0F0
	s_mov_b32 s45, 0xf0f0f0f0                                  // 000000005AC8: BEAD00FF F0F0F0F0
	s_mov_b32 s78, 0xff00ff                                    // 000000005AD0: BECE00FF 00FF00FF
	s_mov_b32 s79, 0xff00ff                                    // 000000005AD8: BECF00FF 00FF00FF
	v_mul_i32_i24_e64 v78, 64, s66                             // 000000005AE0: D106004E 000084C0
	v_mov_b32_e32 v68, s68                                     // 000000005AE8: 7E880244
	s_mov_b32 s52, 0x7060302                                   // 000000005AEC: BEB400FF 07060302
	s_mov_b32 s53, 0x400                                       // 000000005AF4: BEB500FF 00000400
	s_mov_b32 s54, 0x40100                                     // 000000005AFC: BEB600FF 00040100
	s_mov_b32 s55, 0x4020100                                   // 000000005B04: BEB700FF 04020100
	s_mov_b32 s6, 0x3fb8aa3b                                   // 000000005B0C: BE8600FF 3FB8AA3B
	v_mov_b32_e32 v14, 0xff800000                              // 000000005B14: 7E1C02FF FF800000
	v_mov_b32_e32 v63, 0                                       // 000000005B1C: 7E7E0280
	v_mov_b32_e32 v47, 0                                       // 000000005B20: 7E5E0280
	v_mov_b32_e32 v58, 0                                       // 000000005B24: 7E740280
	v_mov_b32_e32 v22, 0xffff0000                              // 000000005B28: 7E2C02FF FFFF0000
	v_mov_b32_e32 v23, 0x7fff0000                              // 000000005B30: 7E2E02FF 7FFF0000
	v_mov_b32_e32 v24, 0x7fff                                  // 000000005B38: 7E3002FF 00007FFF
	v_add_u32_e32 v1, s56, v1                                  // 000000005B40: 68020238
	v_and_b32_e32 v10, 15, v0                                  // 000000005B44: 2614008F
	v_lshlrev_b32_e32 v10, 2, v10                              // 000000005B48: 24141482
	v_lshlrev_b32_e32 v11, 2, v0                               // 000000005B4C: 24160082
	s_mul_i32 s60, 0x100, s7                                   // 000000005B50: 923C07FF 00000100
	v_add_u32_e32 v11, s60, v11                                // 000000005B58: 6816163C
	v_lshrrev_b32_e32 v41, 4, v0                               // 000000005B5C: 20520084
	v_lshlrev_b32_e32 v42, 6, v41                              // 000000005B60: 24545286
	v_and_b32_e32 v41, 15, v0                                  // 000000005B64: 2652008F
	v_lshlrev_b32_e32 v41, 1, v41                              // 000000005B68: 24525281
	v_add_u32_e32 v42, v41, v42                                // 000000005B6C: 68545529
	v_lshlrev_b32_e32 v12, 2, v42                              // 000000005B70: 24185482
	v_lshrrev_b32_e32 v41, 5, v0                               // 000000005B74: 20520085
	v_lshlrev_b32_e32 v42, 5, v41                              // 000000005B78: 24545285
	v_and_b32_e32 v41, 31, v0                                  // 000000005B7C: 2652009F
	v_lshrrev_b32_e32 v43, 4, v41                              // 000000005B80: 20565284
	v_add_u32_e32 v42, v43, v42                                // 000000005B84: 6854552B
	v_and_b32_e32 v41, 15, v0                                  // 000000005B88: 2652008F
	v_lshlrev_b32_e32 v41, 1, v41                              // 000000005B8C: 24525281
	v_add_u32_e32 v42, v41, v42                                // 000000005B90: 68545529
	v_lshlrev_b32_e32 v41, 2, v42                              // 000000005B94: 24525482
	s_mul_i32 s60, 0x100, s7                                   // 000000005B98: 923C07FF 00000100
	v_add_u32_e64 v13, v41, s60                                // 000000005BA0: D134000D 00007929
	v_lshlrev_b32_e32 v6, 4, v0                                // 000000005BA8: 240C0084
	s_mul_i32 s60, s2, s69                                     // 000000005BAC: 923C4502
	s_add_u32 s16, s60, s16                                    // 000000005BB0: 8010103C
	s_addc_u32 s17, 0, s17                                     // 000000005BB4: 82111180
	v_and_b32_e32 v41, 15, v0                                  // 000000005BB8: 2652008F
	v_lshlrev_b32_e32 v7, 4, v41                               // 000000005BBC: 240E5284
	s_mul_i32 s61, s2, s69                                     // 000000005BC0: 923D4502
	s_mul_i32 s60, s7, 0x100                                   // 000000005BC4: 923CFF07 00000100
	s_add_u32 s60, s60, s61                                    // 000000005BCC: 803C3D3C
	s_add_u32 s20, s60, s20                                    // 000000005BD0: 8014143C
	s_addc_u32 s21, 0, s21                                     // 000000005BD4: 82151580
	s_waitcnt vmcnt(4)                                         // 000000005BD8: BF8C0F74
	v_mul_u32_u24_dpp v41, v19, v68 row_newbcast:0 row_mask:0xf bank_mask:0xf// 000000005BDC: 105288FA FF015013
	v_mul_u32_u24_dpp v42, v19, v68 row_newbcast:4 row_mask:0xf bank_mask:0xf// 000000005BE4: 105488FA FF015413
	v_mul_u32_u24_dpp v43, v19, v68 row_newbcast:8 row_mask:0xf bank_mask:0xf// 000000005BEC: 105688FA FF015813
	v_mul_u32_u24_dpp v44, v19, v68 row_newbcast:12 row_mask:0xf bank_mask:0xf// 000000005BF4: 105888FA FF015C13
	v_add_u32_e32 v25, v41, v6                                 // 000000005BFC: 68320D29
	v_add_u32_e32 v26, v42, v6                                 // 000000005C00: 68340D2A
	v_add_u32_e32 v27, v43, v6                                 // 000000005C04: 68360D2B
	v_add_u32_e32 v28, v44, v6                                 // 000000005C08: 68380D2C
	v_mul_u32_u24_dpp v41, v19, v68 row_newbcast:1 row_mask:0xf bank_mask:0xf// 000000005C0C: 105288FA FF015113
	v_mul_u32_u24_dpp v42, v19, v68 row_newbcast:5 row_mask:0xf bank_mask:0xf// 000000005C14: 105488FA FF015513
	v_mul_u32_u24_dpp v43, v19, v68 row_newbcast:9 row_mask:0xf bank_mask:0xf// 000000005C1C: 105688FA FF015913
	v_mul_u32_u24_dpp v44, v19, v68 row_newbcast:13 row_mask:0xf bank_mask:0xf// 000000005C24: 105888FA FF015D13
	v_add_u32_e32 v33, v41, v7                                 // 000000005C2C: 68420F29
	v_add_u32_e32 v34, v42, v7                                 // 000000005C30: 68440F2A
	v_add_u32_e32 v35, v43, v7                                 // 000000005C34: 68460F2B
	v_add_u32_e32 v36, v44, v7                                 // 000000005C38: 68480F2C
	v_mul_u32_u24_dpp v41, v19, v78 quad_perm:[0,0,0,0] row_mask:0xf bank_mask:0xf// 000000005C3C: 10529CFA FF000013
	v_add_u32_e32 v2, v41, v74                                 // 000000005C44: 68049529
	v_mul_u32_u24_dpp v41, v19, v78 quad_perm:[0,0,0,0] row_mask:0xf bank_mask:0xf// 000000005C48: 10529CFA FF000013
	v_add_u32_e32 v70, v41, v75                                // 000000005C50: 688C9729
	buffer_load_dword v52, v2, s[32:35], 0 offen               // 000000005C54: E0501000 80083402
	buffer_load_dwordx4 a[0:3], v25, s[16:19], 0 offen         // 000000005C5C: E05C1000 80840019
	buffer_load_dwordx4 a[4:7], v25, s[16:19], 0 offen offset:1024// 000000005C64: E05C1400 80840419
	buffer_load_dwordx4 a[8:11], v26, s[16:19], 0 offen        // 000000005C6C: E05C1000 8084081A
	buffer_load_dwordx4 a[12:15], v26, s[16:19], 0 offen offset:1024// 000000005C74: E05C1400 80840C1A
	buffer_load_dwordx4 a[16:19], v27, s[16:19], 0 offen       // 000000005C7C: E05C1000 8084101B
	buffer_load_dwordx4 a[20:23], v27, s[16:19], 0 offen offset:1024// 000000005C84: E05C1400 8084141B
	buffer_load_dwordx4 a[24:27], v28, s[16:19], 0 offen       // 000000005C8C: E05C1000 8084181C
	buffer_load_dwordx4 a[28:31], v28, s[16:19], 0 offen offset:1024// 000000005C94: E05C1400 80841C1C
	buffer_load_dword v72, v70, s[36:39], 0 offen              // 000000005C9C: E0501000 80094846
	buffer_load_dwordx4 a[64:67], v33, s[20:23], 0 offen       // 000000005CA4: E05C1000 80854021
	buffer_load_dwordx4 a[68:71], v34, s[20:23], 0 offen       // 000000005CAC: E05C1000 80854422
	buffer_load_dwordx4 a[72:75], v35, s[20:23], 0 offen       // 000000005CB4: E05C1000 80854823
	buffer_load_dwordx4 a[76:79], v36, s[20:23], 0 offen       // 000000005CBC: E05C1000 80854C24
	buffer_load_dwordx4 a[80:83], v33, s[20:23], 0 offen offset:1024// 000000005CC4: E05C1400 80855021
	buffer_load_dwordx4 a[84:87], v34, s[20:23], 0 offen offset:1024// 000000005CCC: E05C1400 80855422
	buffer_load_dwordx4 a[88:91], v35, s[20:23], 0 offen offset:1024// 000000005CD4: E05C1400 80855823
	buffer_load_dwordx4 a[92:95], v36, s[20:23], 0 offen offset:1024// 000000005CDC: E05C1400 80855C24
	v_lshrrev_b32_e32 v41, 4, v0                               // 000000005CE4: 20520084
	v_lshlrev_b32_e32 v42, 1, v41                              // 000000005CE8: 24545281
	v_and_b32_e32 v41, 15, v0                                  // 000000005CEC: 2652008F
	v_mul_i32_i24_e32 v41, 0x42, v41                           // 000000005CF0: 0C5252FF 00000042
	v_add_u32_e32 v42, v41, v42                                // 000000005CF8: 68545529
	v_lshlrev_b32_e32 v4, 2, v42                               // 000000005CFC: 24085482
	s_mul_i32 s60, s7, 32                                      // 000000005D00: 923CA007
	v_add_u32_e32 v4, s60, v4                                  // 000000005D04: 6808083C
	s_waitcnt vmcnt(16) lgkmcnt(0)                             // 000000005D08: BF8C4070
	s_barrier                                                  // 000000005D0C: BF8A0000
	ds_read_b64 v[96:97], v4                                   // 000000005D10: D8EC0000 60000004
	ds_read_b64 v[100:101], v4 offset:128                      // 000000005D18: D8EC0080 64000004
	s_waitcnt lgkmcnt(0)                                       // 000000005D20: BF8CC07F
	v_and_b32_e32 v99, 0xffff0000, v97                         // 000000005D24: 26C6C2FF FFFF0000
	v_lshlrev_b32_e32 v98, 16, v97                             // 000000005D2C: 24C4C290
	v_and_b32_e32 v97, 0xffff0000, v96                         // 000000005D30: 26C2C0FF FFFF0000
	v_lshlrev_b32_e32 v96, 16, v96                             // 000000005D38: 24C0C090
	v_and_b32_e32 v103, 0xffff0000, v101                       // 000000005D3C: 26CECAFF FFFF0000
	v_lshlrev_b32_e32 v102, 16, v101                           // 000000005D44: 24CCCA90
	v_and_b32_e32 v101, 0xffff0000, v100                       // 000000005D48: 26CAC8FF FFFF0000
	v_lshlrev_b32_e32 v100, 16, v100                           // 000000005D50: 24C8C890
	v_mov_b32_e32 v62, 0x358637bd                              // 000000005D54: 7E7C02FF 358637BD
	v_max3_f32 v62, |v96|, |v97|, v62                          // 000000005D5C: D1D3033E 04FAC360
	v_max3_f32 v62, |v98|, |v99|, v62                          // 000000005D64: D1D3033E 04FAC762
	v_max3_f32 v62, |v100|, |v101|, v62                        // 000000005D6C: D1D3033E 04FACB64
	v_max3_f32 v62, |v102|, |v103|, v62                        // 000000005D74: D1D3033E 04FACF66
	ds_write_b32 v11, v62 offset:16896                         // 000000005D7C: D81A4200 00003E0B
	s_waitcnt lgkmcnt(0)                                       // 000000005D84: BF8CC07F
	s_barrier                                                  // 000000005D88: BF8A0000
	ds_read_b32 v80, v10 offset:16896                          // 000000005D8C: D86C4200 5000000A
	ds_read_b32 v81, v10 offset:16960                          // 000000005D94: D86C4240 5100000A
	ds_read_b32 v82, v10 offset:17024                          // 000000005D9C: D86C4280 5200000A
	ds_read_b32 v83, v10 offset:17088                          // 000000005DA4: D86C42C0 5300000A
	ds_read_b32 v84, v10 offset:17152                          // 000000005DAC: D86C4300 5400000A
	ds_read_b32 v85, v10 offset:17216                          // 000000005DB4: D86C4340 5500000A
	ds_read_b32 v86, v10 offset:17280                          // 000000005DBC: D86C4380 5600000A
	ds_read_b32 v87, v10 offset:17344                          // 000000005DC4: D86C43C0 5700000A
	ds_read_b32 v88, v10 offset:17408                          // 000000005DCC: D86C4400 5800000A
	ds_read_b32 v89, v10 offset:17472                          // 000000005DD4: D86C4440 5900000A
	ds_read_b32 v90, v10 offset:17536                          // 000000005DDC: D86C4480 5A00000A
	ds_read_b32 v91, v10 offset:17600                          // 000000005DE4: D86C44C0 5B00000A
	ds_read_b32 v92, v10 offset:17664                          // 000000005DEC: D86C4500 5C00000A
	ds_read_b32 v93, v10 offset:17728                          // 000000005DF4: D86C4540 5D00000A
	ds_read_b32 v94, v10 offset:17792                          // 000000005DFC: D86C4580 5E00000A
	ds_read_b32 v95, v10 offset:17856                          // 000000005E04: D86C45C0 5F00000A
	s_waitcnt lgkmcnt(0)                                       // 000000005E0C: BF8CC07F
	v_max3_f32 v62, |v80|, |v81|, v62                          // 000000005E10: D1D3033E 04FAA350
	v_max3_f32 v62, |v82|, |v83|, v62                          // 000000005E18: D1D3033E 04FAA752
	v_max3_f32 v62, |v84|, |v85|, v62                          // 000000005E20: D1D3033E 04FAAB54
	v_max3_f32 v62, |v86|, |v87|, v62                          // 000000005E28: D1D3033E 04FAAF56
	v_max3_f32 v62, |v88|, |v89|, v62                          // 000000005E30: D1D3033E 04FAB358
	v_max3_f32 v62, |v90|, |v91|, v62                          // 000000005E38: D1D3033E 04FAB75A
	v_max3_f32 v62, |v92|, |v93|, v62                          // 000000005E40: D1D3033E 04FABB5C
	v_max3_f32 v62, |v94|, |v95|, v62                          // 000000005E48: D1D3033E 04FABF5E
	v_rcp_f32_e32 v62, v62                                     // 000000005E50: 7E7C453E
	s_nop 1                                                    // 000000005E54: BF800001
	v_mul_f32_e32 v62, 0x43700000, v62                         // 000000005E58: 0A7C7CFF 43700000
	v_mul_f32_e32 v96, v62, v96                                // 000000005E60: 0AC0C13E
	v_mul_f32_e32 v97, v62, v97                                // 000000005E64: 0AC2C33E
	v_mul_f32_e32 v98, v62, v98                                // 000000005E68: 0AC4C53E
	v_mul_f32_e32 v99, v62, v99                                // 000000005E6C: 0AC6C73E
	v_mul_f32_e32 v100, v62, v100                              // 000000005E70: 0AC8C93E
	v_mul_f32_e32 v101, v62, v101                              // 000000005E74: 0ACACB3E
	v_mul_f32_e32 v102, v62, v102                              // 000000005E78: 0ACCCD3E
	v_mul_f32_e32 v103, v62, v103                              // 000000005E7C: 0ACECF3E
	v_rcp_f32_e32 v54, v62                                     // 000000005E80: 7E6C453E
	v_cvt_pk_fp8_f32 v96, v96, v97                             // 000000005E84: D2A20060 0002C360
	v_cvt_pk_fp8_f32 v96, v98, v99 op_sel:[0,0,1]              // 000000005E8C: D2A24060 0002C762
	v_cvt_pk_fp8_f32 v97, v100, v101                           // 000000005E94: D2A20061 0002CB64
	v_cvt_pk_fp8_f32 v97, v102, v103 op_sel:[0,0,1]            // 000000005E9C: D2A24061 0002CF66
	ds_write_b32 v13, v96 offset:25088                         // 000000005EA4: D81A6200 0000600D
	ds_write_b32 v13, v97 offset:26112                         // 000000005EAC: D81A6600 0000610D
	s_waitcnt lgkmcnt(0)                                       // 000000005EB4: BF8CC07F
	s_barrier                                                  // 000000005EB8: BF8A0000
	ds_read_b64 v[96:97], v12 offset:25088                     // 000000005EBC: D8EC6200 6000000C
	ds_read_b64 v[98:99], v12 offset:25216                     // 000000005EC4: D8EC6280 6200000C
	ds_read_b64 v[100:101], v12 offset:26112                   // 000000005ECC: D8EC6600 6400000C
	ds_read_b64 v[102:103], v12 offset:26240                   // 000000005ED4: D8EC6680 6600000C
	v_mov_b32_e32 v224, 0                                      // 000000005EDC: 7FC00280
	v_mov_b32_e32 v225, 0                                      // 000000005EE0: 7FC20280
	v_mov_b32_e32 v226, 0                                      // 000000005EE4: 7FC40280
	v_mov_b32_e32 v227, 0                                      // 000000005EE8: 7FC60280
	v_mov_b32_e32 v228, 0                                      // 000000005EEC: 7FC80280
	v_mov_b32_e32 v229, 0                                      // 000000005EF0: 7FCA0280
	v_mov_b32_e32 v230, 0                                      // 000000005EF4: 7FCC0280
	v_mov_b32_e32 v231, 0                                      // 000000005EF8: 7FCE0280
	v_mov_b32_e32 v192, 0                                      // 000000005EFC: 7F800280
	v_mov_b32_e32 v193, 0                                      // 000000005F00: 7F820280
	v_mov_b32_e32 v194, 0                                      // 000000005F04: 7F840280
	v_mov_b32_e32 v195, 0                                      // 000000005F08: 7F860280
	v_mov_b32_e32 v196, 0                                      // 000000005F0C: 7F880280
	v_mov_b32_e32 v197, 0                                      // 000000005F10: 7F8A0280
	v_mov_b32_e32 v198, 0                                      // 000000005F14: 7F8C0280
	v_mov_b32_e32 v199, 0                                      // 000000005F18: 7F8E0280
	s_waitcnt vmcnt(8) lgkmcnt(0)                              // 000000005F1C: BF8C0078
	s_barrier                                                  // 000000005F20: BF8A0000
	s_cmp_lt_u32 s73, 16                                       // 000000005F24: BF0A9049
	s_cbranch_scc1 label_188A                                  // 000000005F28: BF85093F
	s_cmp_lt_i32 s7, 2                                         // 000000005F2C: BF048207
	s_cbranch_scc0 label_13ED                                  // 000000005F30: BF8404A0

0000000000005f34 <label_0F4D>:
	s_waitcnt vmcnt(8) lgkmcnt(0)                              // 000000005F34: BF8C0078
	v_mul_u32_u24_dpp v41, v20, v68 row_newbcast:0 row_mask:0xf bank_mask:0xf// 000000005F38: 105288FA FF015014
	v_mul_u32_u24_dpp v42, v20, v68 row_newbcast:4 row_mask:0xf bank_mask:0xf// 000000005F40: 105488FA FF015414
	v_mul_u32_u24_dpp v43, v20, v68 row_newbcast:8 row_mask:0xf bank_mask:0xf// 000000005F48: 105688FA FF015814
	v_mul_u32_u24_dpp v44, v20, v68 row_newbcast:12 row_mask:0xf bank_mask:0xf// 000000005F50: 105888FA FF015C14
	v_add_u32_e32 v29, v41, v6                                 // 000000005F58: 683A0D29
	v_add_u32_e32 v30, v42, v6                                 // 000000005F5C: 683C0D2A
	v_add_u32_e32 v31, v43, v6                                 // 000000005F60: 683E0D2B
	v_add_u32_e32 v32, v44, v6                                 // 000000005F64: 68400D2C
	v_mul_u32_u24_dpp v41, v20, v78 quad_perm:[0,0,0,0] row_mask:0xf bank_mask:0xf// 000000005F68: 10529CFA FF000014
	v_add_u32_e32 v3, v41, v74                                 // 000000005F70: 68069529
	v_mul_u32_u24_dpp v41, v20, v78 quad_perm:[0,0,0,0] row_mask:0xf bank_mask:0xf// 000000005F74: 10529CFA FF000014
	v_add_u32_e32 v71, v41, v75                                // 000000005F7C: 688E9729
	v_mfma_f32_16x16x32_fp8_fp8 v[128:131], a[0:1], v[96:97], 0// 000000005F80: D3F30080 0A02C100
	v_mfma_f32_16x16x32_fp8_fp8 v[128:131], a[2:3], v[98:99], v[128:131]// 000000005F88: D3F30080 0E02C502
	buffer_load_dwordx4 a[32:35], v29, s[16:19], 0 offen       // 000000005F90: E05C1000 8084201D
	v_mfma_f32_16x16x32_fp8_fp8 v[128:131], a[4:5], v[100:101], v[128:131]// 000000005F98: D3F30080 0E02C904
	v_mfma_f32_16x16x32_fp8_fp8 v[128:131], a[6:7], v[102:103], v[128:131]// 000000005FA0: D3F30080 0E02CD06
	buffer_load_dword v19, v1, s[24:27], 0 offen               // 000000005FA8: E0501000 80061301
	v_mfma_f32_16x16x32_fp8_fp8 v[132:135], a[8:9], v[96:97], 0// 000000005FB0: D3F30084 0A02C108
	v_mfma_f32_16x16x32_fp8_fp8 v[132:135], a[10:11], v[98:99], v[132:135]// 000000005FB8: D3F30084 0E12C50A
	buffer_load_dwordx4 a[36:39], v29, s[16:19], 0 offen offset:1024// 000000005FC0: E05C1400 8084241D
	v_mfma_f32_16x16x32_fp8_fp8 v[132:135], a[12:13], v[100:101], v[132:135]// 000000005FC8: D3F30084 0E12C90C
	v_mfma_f32_16x16x32_fp8_fp8 v[132:135], a[14:15], v[102:103], v[132:135]// 000000005FD0: D3F30084 0E12CD0E
	v_mfma_f32_16x16x32_fp8_fp8 v[136:139], a[16:17], v[96:97], 0// 000000005FD8: D3F30088 0A02C110
	v_mfma_f32_16x16x32_fp8_fp8 v[136:139], a[18:19], v[98:99], v[136:139]// 000000005FE0: D3F30088 0E22C512
	buffer_load_dwordx4 a[40:43], v30, s[16:19], 0 offen       // 000000005FE8: E05C1000 8084281E
	v_mfma_f32_16x16x32_fp8_fp8 v[136:139], a[20:21], v[100:101], v[136:139]// 000000005FF0: D3F30088 0E22C914
	v_mfma_f32_16x16x32_fp8_fp8 v[136:139], a[22:23], v[102:103], v[136:139]// 000000005FF8: D3F30088 0E22CD16
	v_mfma_f32_16x16x32_fp8_fp8 v[140:143], a[24:25], v[96:97], 0// 000000006000: D3F3008C 0A02C118
	v_mfma_f32_16x16x32_fp8_fp8 v[140:143], a[26:27], v[98:99], v[140:143]// 000000006008: D3F3008C 0E32C51A
	buffer_load_dwordx4 a[44:47], v30, s[16:19], 0 offen offset:1024// 000000006010: E05C1400 80842C1E
	v_mfma_f32_16x16x32_fp8_fp8 v[140:143], a[28:29], v[100:101], v[140:143]// 000000006018: D3F3008C 0E32C91C
	v_mfma_f32_16x16x32_fp8_fp8 v[140:143], a[30:31], v[102:103], v[140:143]// 000000006020: D3F3008C 0E32CD1E
	buffer_load_dword v53, v3, s[32:35], 0 offen               // 000000006028: E0501000 80083503
	v_mov_b32_dpp v41, v52 row_shr:4 row_mask:0xf bank_mask:0xf// 000000006030: 7E5202FA FF011434
	v_mov_b32_dpp v42, v52 row_shl:4 row_mask:0xf bank_mask:0xf// 000000006038: 7E5402FA FF010434
	v_cndmask_b32_e64 v248, v52, v41, s[44:45]                 // 000000006040: D10000F8 00B25334
	v_cndmask_b32_e64 v249, v42, v52, s[44:45]                 // 000000006048: D10000F9 00B2692A
	v_mov_b32_dpp v41, v248 row_shr:8 row_mask:0xf bank_mask:0xf// 000000006050: 7E5202FA FF0118F8
	v_mov_b32_dpp v42, v248 row_shl:8 row_mask:0xf bank_mask:0xf// 000000006058: 7E5402FA FF0108F8
	v_mov_b32_dpp v43, v249 row_shr:8 row_mask:0xf bank_mask:0xf// 000000006060: 7E5602FA FF0118F9
	v_mov_b32_dpp v44, v249 row_shl:8 row_mask:0xf bank_mask:0xf// 000000006068: 7E5802FA FF0108F9
	v_mov_b32_e32 v45, v248                                    // 000000006070: 7E5A03F8
	v_mov_b32_e32 v46, v249                                    // 000000006074: 7E5C03F9
	v_cndmask_b32_e64 v248, v45, v41, s[42:43]                 // 000000006078: D10000F8 00AA532D
	v_cndmask_b32_e64 v250, v45, v42, s[78:79]                 // 000000006080: D10000FA 013A552D
	v_cndmask_b32_e64 v249, v46, v43, s[42:43]                 // 000000006088: D10000F9 00AA572E
	v_cndmask_b32_e64 v251, v46, v44, s[78:79]                 // 000000006090: D10000FB 013A592E
	v_mov_b32_dpp v41, v72 row_shr:4 row_mask:0xf bank_mask:0xf// 000000006098: 7E5202FA FF011448
	v_mov_b32_dpp v42, v72 row_shl:4 row_mask:0xf bank_mask:0xf// 0000000060A0: 7E5402FA FF010448
	v_cndmask_b32_e64 v252, v72, v41, s[44:45]                 // 0000000060A8: D10000FC 00B25348
	v_cndmask_b32_e64 v253, v42, v72, s[44:45]                 // 0000000060B0: D10000FD 00B2912A
	v_mov_b32_dpp v41, v252 row_shr:8 row_mask:0xf bank_mask:0xf// 0000000060B8: 7E5202FA FF0118FC
	v_mov_b32_dpp v42, v252 row_shl:8 row_mask:0xf bank_mask:0xf// 0000000060C0: 7E5402FA FF0108FC
	v_mov_b32_dpp v43, v253 row_shr:8 row_mask:0xf bank_mask:0xf// 0000000060C8: 7E5602FA FF0118FD
	v_mov_b32_dpp v44, v253 row_shl:8 row_mask:0xf bank_mask:0xf// 0000000060D0: 7E5802FA FF0108FD
	v_mov_b32_e32 v45, v252                                    // 0000000060D8: 7E5A03FC
	v_mov_b32_e32 v46, v253                                    // 0000000060DC: 7E5C03FD
	v_cndmask_b32_e64 v252, v45, v41, s[42:43]                 // 0000000060E0: D10000FC 00AA532D
	v_cndmask_b32_e64 v254, v45, v42, s[78:79]                 // 0000000060E8: D10000FE 013A552D
	v_cndmask_b32_e64 v253, v46, v43, s[42:43]                 // 0000000060F0: D10000FD 00AA572E
	v_cndmask_b32_e64 v255, v46, v44, s[78:79]                 // 0000000060F8: D10000FF 013A592E
	buffer_load_dword v73, v71, s[36:39], 0 offen              // 000000006100: E0501000 80094947
	v_mul_f32_e32 v128, v54, v128                              // 000000006108: 0B010136
	v_mul_f32_e32 v129, v54, v129                              // 00000000610C: 0B030336
	v_mul_f32_e32 v130, v54, v130                              // 000000006110: 0B050536
	v_mul_f32_e32 v131, v54, v131                              // 000000006114: 0B070736
	v_mul_f32_e32 v132, v54, v132                              // 000000006118: 0B090936
	v_mul_f32_e32 v133, v54, v133                              // 00000000611C: 0B0B0B36
	v_mul_f32_e32 v134, v54, v134                              // 000000006120: 0B0D0D36
	v_mul_f32_e32 v135, v54, v135                              // 000000006124: 0B0F0F36
	v_mul_f32_e32 v136, v54, v136                              // 000000006128: 0B111136
	v_mul_f32_e32 v137, v54, v137                              // 00000000612C: 0B131336
	v_mul_f32_e32 v138, v54, v138                              // 000000006130: 0B151536
	v_mul_f32_e32 v139, v54, v139                              // 000000006134: 0B171736
	v_mul_f32_e32 v140, v54, v140                              // 000000006138: 0B191936
	v_mul_f32_e32 v141, v54, v141                              // 00000000613C: 0B1B1B36
	v_mul_f32_e32 v142, v54, v142                              // 000000006140: 0B1D1D36
	v_mul_f32_e32 v143, v54, v143                              // 000000006144: 0B1F1F36
	buffer_load_dwordx4 a[48:51], v31, s[16:19], 0 offen       // 000000006148: E05C1000 8084301F
	v_mul_f32_dpp v128, v248, v128 quad_perm:[0,0,0,0] row_mask:0xf bank_mask:0xf// 000000006150: 0B0100FA FF0000F8
	v_mul_f32_dpp v129, v248, v129 quad_perm:[1,1,1,1] row_mask:0xf bank_mask:0xf// 000000006158: 0B0302FA FF0055F8
	v_mul_f32_dpp v130, v248, v130 quad_perm:[2,2,2,2] row_mask:0xf bank_mask:0xf// 000000006160: 0B0504FA FF00AAF8
	v_mul_f32_dpp v131, v248, v131 quad_perm:[3,3,3,3] row_mask:0xf bank_mask:0xf// 000000006168: 0B0706FA FF00FFF8
	v_mul_f32_dpp v132, v249, v132 quad_perm:[0,0,0,0] row_mask:0xf bank_mask:0xf// 000000006170: 0B0908FA FF0000F9
	v_mul_f32_dpp v133, v249, v133 quad_perm:[1,1,1,1] row_mask:0xf bank_mask:0xf// 000000006178: 0B0B0AFA FF0055F9
	v_mul_f32_dpp v134, v249, v134 quad_perm:[2,2,2,2] row_mask:0xf bank_mask:0xf// 000000006180: 0B0D0CFA FF00AAF9
	v_mul_f32_dpp v135, v249, v135 quad_perm:[3,3,3,3] row_mask:0xf bank_mask:0xf// 000000006188: 0B0F0EFA FF00FFF9
	v_mul_f32_dpp v136, v250, v136 quad_perm:[0,0,0,0] row_mask:0xf bank_mask:0xf// 000000006190: 0B1110FA FF0000FA
	v_mul_f32_dpp v137, v250, v137 quad_perm:[1,1,1,1] row_mask:0xf bank_mask:0xf// 000000006198: 0B1312FA FF0055FA
	v_mul_f32_dpp v138, v250, v138 quad_perm:[2,2,2,2] row_mask:0xf bank_mask:0xf// 0000000061A0: 0B1514FA FF00AAFA
	v_mul_f32_dpp v139, v250, v139 quad_perm:[3,3,3,3] row_mask:0xf bank_mask:0xf// 0000000061A8: 0B1716FA FF00FFFA
	v_mul_f32_dpp v140, v251, v140 quad_perm:[0,0,0,0] row_mask:0xf bank_mask:0xf// 0000000061B0: 0B1918FA FF0000FB
	v_mul_f32_dpp v141, v251, v141 quad_perm:[1,1,1,1] row_mask:0xf bank_mask:0xf// 0000000061B8: 0B1B1AFA FF0055FB
	v_mul_f32_dpp v142, v251, v142 quad_perm:[2,2,2,2] row_mask:0xf bank_mask:0xf// 0000000061C0: 0B1D1CFA FF00AAFB
	v_mul_f32_dpp v143, v251, v143 quad_perm:[3,3,3,3] row_mask:0xf bank_mask:0xf// 0000000061C8: 0B1F1EFA FF00FFFB
	buffer_load_dwordx4 a[52:55], v31, s[16:19], 0 offen offset:1024// 0000000061D0: E05C1400 8084341F
	v_mov_b32_e32 v62, v128                                    // 0000000061D8: 7E7C0380
	v_max3_f32 v62, v128, v129, v62                            // 0000000061DC: D1D3003E 04FB0380
	v_max3_f32 v62, v130, v131, v62                            // 0000000061E4: D1D3003E 04FB0782
	v_max3_f32 v62, v132, v133, v62                            // 0000000061EC: D1D3003E 04FB0B84
	v_max3_f32 v62, v134, v135, v62                            // 0000000061F4: D1D3003E 04FB0F86
	v_max3_f32 v62, v136, v137, v62                            // 0000000061FC: D1D3003E 04FB1388
	v_max3_f32 v62, v138, v139, v62                            // 000000006204: D1D3003E 04FB178A
	v_max3_f32 v62, v140, v141, v62                            // 00000000620C: D1D3003E 04FB1B8C
	v_max3_f32 v62, v142, v143, v62                            // 000000006214: D1D3003E 04FB1F8E
	ds_write_b32 v11, v62 offset:16896                         // 00000000621C: D81A4200 00003E0B
	buffer_load_dwordx4 a[56:59], v32, s[16:19], 0 offen       // 000000006224: E05C1000 80843820
	v_mul_u32_u24_dpp v41, v20, v68 row_newbcast:1 row_mask:0xf bank_mask:0xf// 00000000622C: 105288FA FF015114
	v_mul_u32_u24_dpp v42, v20, v68 row_newbcast:5 row_mask:0xf bank_mask:0xf// 000000006234: 105488FA FF015514
	v_mul_u32_u24_dpp v43, v20, v68 row_newbcast:9 row_mask:0xf bank_mask:0xf// 00000000623C: 105688FA FF015914
	v_mul_u32_u24_dpp v44, v20, v68 row_newbcast:13 row_mask:0xf bank_mask:0xf// 000000006244: 105888FA FF015D14
	v_add_u32_e32 v37, v41, v7                                 // 00000000624C: 684A0F29
	v_add_u32_e32 v38, v42, v7                                 // 000000006250: 684C0F2A
	v_add_u32_e32 v39, v43, v7                                 // 000000006254: 684E0F2B
	v_add_u32_e32 v40, v44, v7                                 // 000000006258: 68500F2C
	v_mul_f32_e32 v224, v63, v224                              // 00000000625C: 0BC1C13F
	v_mul_f32_e32 v225, v63, v225                              // 000000006260: 0BC3C33F
	v_mul_f32_e32 v226, v63, v226                              // 000000006264: 0BC5C53F
	v_mul_f32_e32 v227, v63, v227                              // 000000006268: 0BC7C73F
	v_mul_f32_e32 v228, v63, v228                              // 00000000626C: 0BC9C93F
	v_mul_f32_e32 v229, v63, v229                              // 000000006270: 0BCBCB3F
	v_mul_f32_e32 v230, v63, v230                              // 000000006274: 0BCDCD3F
	v_mul_f32_e32 v231, v63, v231                              // 000000006278: 0BCFCF3F
	s_waitcnt lgkmcnt(0)                                       // 00000000627C: BF8CC07F
	s_barrier                                                  // 000000006280: BF8A0000
	ds_read_b32 v80, v10 offset:16896                          // 000000006284: D86C4200 5000000A
	ds_read_b32 v81, v10 offset:16960                          // 00000000628C: D86C4240 5100000A
	ds_read_b32 v82, v10 offset:17024                          // 000000006294: D86C4280 5200000A
	ds_read_b32 v83, v10 offset:17088                          // 00000000629C: D86C42C0 5300000A
	ds_read_b32 v84, v10 offset:17152                          // 0000000062A4: D86C4300 5400000A
	ds_read_b32 v85, v10 offset:17216                          // 0000000062AC: D86C4340 5500000A
	ds_read_b32 v86, v10 offset:17280                          // 0000000062B4: D86C4380 5600000A
	ds_read_b32 v87, v10 offset:17344                          // 0000000062BC: D86C43C0 5700000A
	ds_read_b32 v88, v10 offset:17408                          // 0000000062C4: D86C4400 5800000A
	ds_read_b32 v89, v10 offset:17472                          // 0000000062CC: D86C4440 5900000A
	ds_read_b32 v90, v10 offset:17536                          // 0000000062D4: D86C4480 5A00000A
	ds_read_b32 v91, v10 offset:17600                          // 0000000062DC: D86C44C0 5B00000A
	ds_read_b32 v92, v10 offset:17664                          // 0000000062E4: D86C4500 5C00000A
	ds_read_b32 v93, v10 offset:17728                          // 0000000062EC: D86C4540 5D00000A
	ds_read_b32 v94, v10 offset:17792                          // 0000000062F4: D86C4580 5E00000A
	ds_read_b32 v95, v10 offset:17856                          // 0000000062FC: D86C45C0 5F00000A
	buffer_load_dwordx4 a[60:63], v32, s[16:19], 0 offen offset:1024// 000000006304: E05C1400 80843C20
	v_mul_f32_e32 v192, v58, v192                              // 00000000630C: 0B81813A
	v_mul_f32_e32 v193, v58, v193                              // 000000006310: 0B83833A
	v_mul_f32_e32 v194, v58, v194                              // 000000006314: 0B85853A
	v_mul_f32_e32 v195, v58, v195                              // 000000006318: 0B87873A
	v_mul_f32_e32 v196, v58, v196                              // 00000000631C: 0B89893A
	v_mul_f32_e32 v197, v58, v197                              // 000000006320: 0B8B8B3A
	v_mul_f32_e32 v198, v58, v198                              // 000000006324: 0B8D8D3A
	v_mul_f32_e32 v199, v58, v199                              // 000000006328: 0B8F8F3A
	s_waitcnt lgkmcnt(0)                                       // 00000000632C: BF8CC07F
	v_max3_f32 v62, v80, v81, v62                              // 000000006330: D1D3003E 04FAA350
	v_max3_f32 v62, v82, v83, v62                              // 000000006338: D1D3003E 04FAA752
	v_max3_f32 v62, v84, v85, v62                              // 000000006340: D1D3003E 04FAAB54
	v_max3_f32 v62, v86, v87, v62                              // 000000006348: D1D3003E 04FAAF56
	v_max3_f32 v62, v88, v89, v62                              // 000000006350: D1D3003E 04FAB358
	v_max3_f32 v62, v90, v91, v62                              // 000000006358: D1D3003E 04FAB75A
	v_max3_f32 v62, v92, v93, v62                              // 000000006360: D1D3003E 04FABB5C
	v_max3_f32 v62, v94, v95, v62                              // 000000006368: D1D3003E 04FABF5E
	buffer_load_dwordx4 a[96:99], v37, s[20:23], 0 offen       // 000000006370: E05C1000 80856025
	v_mov_b32_e32 v41, 0xff800000                              // 000000006378: 7E5202FF FF800000
	v_cmp_eq_u32_e64 s[40:41], v41, v14                        // 000000006380: D0CA0028 00021D29
	s_nop 1                                                    // 000000006388: BF800001
	v_max_f32_e32 v18, v62, v14                                // 00000000638C: 16241D3E
	v_mul_f32_e32 v67, s64, v18                                // 000000006390: 0A862440
	v_fma_f32 v128, v128, s64, -v67                            // 000000006394: D1CB0080 850C8180
	v_fma_f32 v129, v129, s64, -v67                            // 00000000639C: D1CB0081 850C8181
	v_fma_f32 v130, v130, s64, -v67                            // 0000000063A4: D1CB0082 850C8182
	v_fma_f32 v131, v131, s64, -v67                            // 0000000063AC: D1CB0083 850C8183
	v_fma_f32 v132, v132, s64, -v67                            // 0000000063B4: D1CB0084 850C8184
	v_fma_f32 v133, v133, s64, -v67                            // 0000000063BC: D1CB0085 850C8185
	v_fma_f32 v134, v134, s64, -v67                            // 0000000063C4: D1CB0086 850C8186
	v_fma_f32 v135, v135, s64, -v67                            // 0000000063CC: D1CB0087 850C8187
	v_fma_f32 v136, v136, s64, -v67                            // 0000000063D4: D1CB0088 850C8188
	v_fma_f32 v137, v137, s64, -v67                            // 0000000063DC: D1CB0089 850C8189
	v_fma_f32 v138, v138, s64, -v67                            // 0000000063E4: D1CB008A 850C818A
	v_fma_f32 v139, v139, s64, -v67                            // 0000000063EC: D1CB008B 850C818B
	v_fma_f32 v140, v140, s64, -v67                            // 0000000063F4: D1CB008C 850C818C
	v_fma_f32 v141, v141, s64, -v67                            // 0000000063FC: D1CB008D 850C818D
	v_fma_f32 v142, v142, s64, -v67                            // 000000006404: D1CB008E 850C818E
	v_fma_f32 v143, v143, s64, -v67                            // 00000000640C: D1CB008F 850C818F
	buffer_load_dwordx4 a[100:103], v38, s[20:23], 0 offen     // 000000006414: E05C1000 80856426
	v_exp_f32_e32 v128, v128                                   // 00000000641C: 7F004180
	v_exp_f32_e32 v129, v129                                   // 000000006420: 7F024181
	v_exp_f32_e32 v130, v130                                   // 000000006424: 7F044182
	v_exp_f32_e32 v131, v131                                   // 000000006428: 7F064183
	v_exp_f32_e32 v132, v132                                   // 00000000642C: 7F084184
	v_exp_f32_e32 v133, v133                                   // 000000006430: 7F0A4185
	v_exp_f32_e32 v134, v134                                   // 000000006434: 7F0C4186
	v_exp_f32_e32 v135, v135                                   // 000000006438: 7F0E4187
	v_exp_f32_e32 v136, v136                                   // 00000000643C: 7F104188
	v_exp_f32_e32 v137, v137                                   // 000000006440: 7F124189
	v_exp_f32_e32 v138, v138                                   // 000000006444: 7F14418A
	v_exp_f32_e32 v139, v139                                   // 000000006448: 7F16418B
	v_exp_f32_e32 v140, v140                                   // 00000000644C: 7F18418C
	v_exp_f32_e32 v141, v141                                   // 000000006450: 7F1A418D
	v_exp_f32_e32 v142, v142                                   // 000000006454: 7F1C418E
	v_exp_f32_e32 v143, v143                                   // 000000006458: 7F1E418F
	buffer_load_dwordx4 a[104:107], v39, s[20:23], 0 offen     // 00000000645C: E05C1000 80856827
	v_mul_f32_dpp v240, v252, v128 quad_perm:[0,0,0,0] row_mask:0xf bank_mask:0xf// 000000006464: 0BE100FA FF0000FC
	v_mul_f32_dpp v241, v252, v129 quad_perm:[1,1,1,1] row_mask:0xf bank_mask:0xf// 00000000646C: 0BE302FA FF0055FC
	v_mul_f32_dpp v242, v252, v130 quad_perm:[2,2,2,2] row_mask:0xf bank_mask:0xf// 000000006474: 0BE504FA FF00AAFC
	v_mul_f32_dpp v243, v252, v131 quad_perm:[3,3,3,3] row_mask:0xf bank_mask:0xf// 00000000647C: 0BE706FA FF00FFFC
	v_mul_f32_dpp v244, v253, v132 quad_perm:[0,0,0,0] row_mask:0xf bank_mask:0xf// 000000006484: 0BE908FA FF0000FD
	v_mul_f32_dpp v245, v253, v133 quad_perm:[1,1,1,1] row_mask:0xf bank_mask:0xf// 00000000648C: 0BEB0AFA FF0055FD
	v_mul_f32_dpp v246, v253, v134 quad_perm:[2,2,2,2] row_mask:0xf bank_mask:0xf// 000000006494: 0BED0CFA FF00AAFD
	v_mul_f32_dpp v247, v253, v135 quad_perm:[3,3,3,3] row_mask:0xf bank_mask:0xf// 00000000649C: 0BEF0EFA FF00FFFD
	v_mul_f32_dpp v248, v254, v136 quad_perm:[0,0,0,0] row_mask:0xf bank_mask:0xf// 0000000064A4: 0BF110FA FF0000FE
	v_mul_f32_dpp v249, v254, v137 quad_perm:[1,1,1,1] row_mask:0xf bank_mask:0xf// 0000000064AC: 0BF312FA FF0055FE
	v_mul_f32_dpp v250, v254, v138 quad_perm:[2,2,2,2] row_mask:0xf bank_mask:0xf// 0000000064B4: 0BF514FA FF00AAFE
	v_mul_f32_dpp v251, v254, v139 quad_perm:[3,3,3,3] row_mask:0xf bank_mask:0xf// 0000000064BC: 0BF716FA FF00FFFE
	v_mul_f32_dpp v252, v255, v140 quad_perm:[0,0,0,0] row_mask:0xf bank_mask:0xf// 0000000064C4: 0BF918FA FF0000FF
	v_mul_f32_dpp v253, v255, v141 quad_perm:[1,1,1,1] row_mask:0xf bank_mask:0xf// 0000000064CC: 0BFB1AFA FF0055FF
	v_mul_f32_dpp v254, v255, v142 quad_perm:[2,2,2,2] row_mask:0xf bank_mask:0xf// 0000000064D4: 0BFD1CFA FF00AAFF
	v_mul_f32_dpp v255, v255, v143 quad_perm:[3,3,3,3] row_mask:0xf bank_mask:0xf// 0000000064DC: 0BFF1EFA FF00FFFF
	v_mov_b32_e32 v62, 0x358637bd                              // 0000000064E4: 7E7C02FF 358637BD
	v_max3_f32 v62, |v240|, |v241|, v62                        // 0000000064EC: D1D3033E 04FBE3F0
	v_max3_f32 v62, |v242|, |v243|, v62                        // 0000000064F4: D1D3033E 04FBE7F2
	v_max3_f32 v62, |v244|, |v245|, v62                        // 0000000064FC: D1D3033E 04FBEBF4
	v_max3_f32 v62, |v246|, |v247|, v62                        // 000000006504: D1D3033E 04FBEFF6
	v_max3_f32 v62, |v248|, |v249|, v62                        // 00000000650C: D1D3033E 04FBF3F8
	v_max3_f32 v62, |v250|, |v251|, v62                        // 000000006514: D1D3033E 04FBF7FA
	v_max3_f32 v62, |v252|, |v253|, v62                        // 00000000651C: D1D3033E 04FBFBFC
	v_max3_f32 v62, |v254|, |v255|, v62                        // 000000006524: D1D3033E 04FBFFFE
	buffer_load_dwordx4 a[108:111], v40, s[20:23], 0 offen     // 00000000652C: E05C1000 80856C28
	ds_write_b32 v11, v62 offset:20992                         // 000000006534: D81A5200 00003E0B
	v_sub_f32_e32 v63, v14, v18                                // 00000000653C: 047E250E
	v_cndmask_b32_e64 v63, v63, 0, s[40:41]                    // 000000006540: D100003F 00A1013F
	v_mov_b32_e32 v14, v18                                     // 000000006548: 7E1C0312
	v_mul_f32_e32 v63, s64, v63                                // 00000000654C: 0A7E7E40
	v_exp_f32_e32 v63, v63                                     // 000000006550: 7E7E413F
	s_waitcnt lgkmcnt(0)                                       // 000000006554: BF8CC07F
	s_barrier                                                  // 000000006558: BF8A0000
	ds_read_b32 v80, v10 offset:20992                          // 00000000655C: D86C5200 5000000A
	ds_read_b32 v81, v10 offset:21056                          // 000000006564: D86C5240 5100000A
	ds_read_b32 v82, v10 offset:21120                          // 00000000656C: D86C5280 5200000A
	ds_read_b32 v83, v10 offset:21184                          // 000000006574: D86C52C0 5300000A
	ds_read_b32 v84, v10 offset:21248                          // 00000000657C: D86C5300 5400000A
	ds_read_b32 v85, v10 offset:21312                          // 000000006584: D86C5340 5500000A
	ds_read_b32 v86, v10 offset:21376                          // 00000000658C: D86C5380 5600000A
	ds_read_b32 v87, v10 offset:21440                          // 000000006594: D86C53C0 5700000A
	ds_read_b32 v88, v10 offset:21504                          // 00000000659C: D86C5400 5800000A
	ds_read_b32 v89, v10 offset:21568                          // 0000000065A4: D86C5440 5900000A
	ds_read_b32 v90, v10 offset:21632                          // 0000000065AC: D86C5480 5A00000A
	ds_read_b32 v91, v10 offset:21696                          // 0000000065B4: D86C54C0 5B00000A
	ds_read_b32 v92, v10 offset:21760                          // 0000000065BC: D86C5500 5C00000A
	ds_read_b32 v93, v10 offset:21824                          // 0000000065C4: D86C5540 5D00000A
	ds_read_b32 v94, v10 offset:21888                          // 0000000065CC: D86C5580 5E00000A
	ds_read_b32 v95, v10 offset:21952                          // 0000000065D4: D86C55C0 5F00000A
	v_mul_f32_e32 v47, v63, v47                                // 0000000065DC: 0A5E5F3F
	v_mov_b32_e32 v18, v128                                    // 0000000065E0: 7E240380
	v_add_f32_e32 v18, v129, v18                               // 0000000065E4: 02242581
	v_add_f32_e32 v18, v130, v18                               // 0000000065E8: 02242582
	v_add_f32_e32 v18, v131, v18                               // 0000000065EC: 02242583
	v_add_f32_e32 v18, v132, v18                               // 0000000065F0: 02242584
	v_add_f32_e32 v18, v133, v18                               // 0000000065F4: 02242585
	v_add_f32_e32 v18, v134, v18                               // 0000000065F8: 02242586
	v_add_f32_e32 v18, v135, v18                               // 0000000065FC: 02242587
	v_add_f32_e32 v18, v136, v18                               // 000000006600: 02242588
	v_add_f32_e32 v18, v137, v18                               // 000000006604: 02242589
	v_add_f32_e32 v18, v138, v18                               // 000000006608: 0224258A
	v_add_f32_e32 v18, v139, v18                               // 00000000660C: 0224258B
	v_add_f32_e32 v18, v140, v18                               // 000000006610: 0224258C
	v_add_f32_e32 v18, v141, v18                               // 000000006614: 0224258D
	v_add_f32_e32 v18, v142, v18                               // 000000006618: 0224258E
	v_add_f32_e32 v18, v143, v18                               // 00000000661C: 0224258F
	v_add_f32_e32 v47, v18, v47                                // 000000006620: 025E5F12
	s_waitcnt lgkmcnt(0)                                       // 000000006624: BF8CC07F
	v_max3_f32 v62, |v80|, |v81|, v62                          // 000000006628: D1D3033E 04FAA350
	v_max3_f32 v62, |v82|, |v83|, v62                          // 000000006630: D1D3033E 04FAA752
	v_max3_f32 v62, |v84|, |v85|, v62                          // 000000006638: D1D3033E 04FAAB54
	v_max3_f32 v62, |v86|, |v87|, v62                          // 000000006640: D1D3033E 04FAAF56
	v_max3_f32 v62, |v88|, |v89|, v62                          // 000000006648: D1D3033E 04FAB358
	v_max3_f32 v62, |v90|, |v91|, v62                          // 000000006650: D1D3033E 04FAB75A
	v_max3_f32 v62, |v92|, |v93|, v62                          // 000000006658: D1D3033E 04FABB5C
	v_max3_f32 v62, |v94|, |v95|, v62                          // 000000006660: D1D3033E 04FABF5E
	s_nop 2                                                    // 000000006668: BF800002
	v_rcp_f32_e32 v62, v62                                     // 00000000666C: 7E7C453E
	s_nop 1                                                    // 000000006670: BF800001
	v_mul_f32_e32 v62, 0x43700000, v62                         // 000000006674: 0A7C7CFF 43700000
	v_mul_f32_e32 v128, v62, v240                              // 00000000667C: 0B01E13E
	v_mul_f32_e32 v129, v62, v241                              // 000000006680: 0B03E33E
	v_mul_f32_e32 v130, v62, v242                              // 000000006684: 0B05E53E
	v_mul_f32_e32 v131, v62, v243                              // 000000006688: 0B07E73E
	v_mul_f32_e32 v132, v62, v244                              // 00000000668C: 0B09E93E
	v_mul_f32_e32 v133, v62, v245                              // 000000006690: 0B0BEB3E
	v_mul_f32_e32 v134, v62, v246                              // 000000006694: 0B0DED3E
	v_mul_f32_e32 v135, v62, v247                              // 000000006698: 0B0FEF3E
	v_mul_f32_e32 v136, v62, v248                              // 00000000669C: 0B11F13E
	v_mul_f32_e32 v137, v62, v249                              // 0000000066A0: 0B13F33E
	v_mul_f32_e32 v138, v62, v250                              // 0000000066A4: 0B15F53E
	v_mul_f32_e32 v139, v62, v251                              // 0000000066A8: 0B17F73E
	v_mul_f32_e32 v140, v62, v252                              // 0000000066AC: 0B19F93E
	v_mul_f32_e32 v141, v62, v253                              // 0000000066B0: 0B1BFB3E
	v_mul_f32_e32 v142, v62, v254                              // 0000000066B4: 0B1DFD3E
	v_mul_f32_e32 v143, v62, v255                              // 0000000066B8: 0B1FFF3E
	v_cvt_pk_fp8_f32 v128, v128, v129                          // 0000000066BC: D2A20080 00030380
	v_cvt_pk_fp8_f32 v128, v130, v131 op_sel:[0,0,1]           // 0000000066C4: D2A24080 00030782
	v_cvt_pk_fp8_f32 v129, v132, v133                          // 0000000066CC: D2A20081 00030B84
	v_cvt_pk_fp8_f32 v129, v134, v135 op_sel:[0,0,1]           // 0000000066D4: D2A24081 00030F86
	v_cvt_pk_fp8_f32 v130, v136, v137                          // 0000000066DC: D2A20082 00031388
	v_cvt_pk_fp8_f32 v130, v138, v139 op_sel:[0,0,1]           // 0000000066E4: D2A24082 0003178A
	v_cvt_pk_fp8_f32 v131, v140, v141                          // 0000000066EC: D2A20083 00031B8C
	v_cvt_pk_fp8_f32 v131, v142, v143 op_sel:[0,0,1]           // 0000000066F4: D2A24083 00031F8E
	ds_write_b32 v13, v128 offset:25088                        // 0000000066FC: D81A6200 0000800D
	ds_write_b32 v13, v129 offset:26112                        // 000000006704: D81A6600 0000810D
	ds_write_b32 v13, v130 offset:27136                        // 00000000670C: D81A6A00 0000820D
	ds_write_b32 v13, v131 offset:28160                        // 000000006714: D81A6E00 0000830D
	v_add_f32_e32 v224, v224, v192                             // 00000000671C: 03C181E0
	v_add_f32_e32 v225, v225, v193                             // 000000006720: 03C383E1
	v_add_f32_e32 v226, v226, v194                             // 000000006724: 03C585E2
	v_add_f32_e32 v227, v227, v195                             // 000000006728: 03C787E3
	v_add_f32_e32 v228, v228, v196                             // 00000000672C: 03C989E4
	v_add_f32_e32 v229, v229, v197                             // 000000006730: 03CB8BE5
	v_add_f32_e32 v230, v230, v198                             // 000000006734: 03CD8DE6
	v_add_f32_e32 v231, v231, v199                             // 000000006738: 03CF8FE7
	v_rcp_f32_e32 v58, v62                                     // 00000000673C: 7E74453E
	s_waitcnt lgkmcnt(0)                                       // 000000006740: BF8CC07F
	s_barrier                                                  // 000000006744: BF8A0000
	ds_read_b64 v[128:129], v12 offset:25088                   // 000000006748: D8EC6200 8000000C
	ds_read_b64 v[130:131], v12 offset:25216                   // 000000006750: D8EC6280 8200000C
	ds_read_b64 v[132:133], v12 offset:26112                   // 000000006758: D8EC6600 8400000C
	ds_read_b64 v[134:135], v12 offset:26240                   // 000000006760: D8EC6680 8600000C
	ds_read_b64 v[136:137], v12 offset:27136                   // 000000006768: D8EC6A00 8800000C
	ds_read_b64 v[138:139], v12 offset:27264                   // 000000006770: D8EC6A80 8A00000C
	ds_read_b64 v[140:141], v12 offset:28160                   // 000000006778: D8EC6E00 8C00000C
	ds_read_b64 v[142:143], v12 offset:28288                   // 000000006780: D8EC6E80 8E00000C
	s_waitcnt vmcnt(15)                                        // 000000006788: BF8C0F7F
	s_waitcnt lgkmcnt(7)                                       // 00000000678C: BF8CC77F
	v_mfma_f32_16x16x32_fp8_fp8 v[192:195], a[64:65], v[128:129], 0// 000000006790: D3F300C0 0A030140
	s_waitcnt lgkmcnt(6)                                       // 000000006798: BF8CC67F
	v_mfma_f32_16x16x32_fp8_fp8 v[192:195], a[66:67], v[130:131], v[192:195]// 00000000679C: D3F300C0 0F030542
	buffer_load_dwordx4 a[112:115], v37, s[20:23], 0 offen offset:1024// 0000000067A4: E05C1400 80857025
	s_waitcnt lgkmcnt(5)                                       // 0000000067AC: BF8CC57F
	v_mfma_f32_16x16x32_fp8_fp8 v[192:195], a[68:69], v[132:133], v[192:195]// 0000000067B0: D3F300C0 0F030944
	s_waitcnt lgkmcnt(4)                                       // 0000000067B8: BF8CC47F
	v_mfma_f32_16x16x32_fp8_fp8 v[192:195], a[70:71], v[134:135], v[192:195]// 0000000067BC: D3F300C0 0F030D46
	s_waitcnt lgkmcnt(3)                                       // 0000000067C4: BF8CC37F
	v_mfma_f32_16x16x32_fp8_fp8 v[192:195], a[72:73], v[136:137], v[192:195]// 0000000067C8: D3F300C0 0F031148
	s_waitcnt lgkmcnt(2)                                       // 0000000067D0: BF8CC27F
	v_mfma_f32_16x16x32_fp8_fp8 v[192:195], a[74:75], v[138:139], v[192:195]// 0000000067D4: D3F300C0 0F03154A
	buffer_load_dwordx4 a[116:119], v38, s[20:23], 0 offen offset:1024// 0000000067DC: E05C1400 80857426
	s_waitcnt lgkmcnt(1)                                       // 0000000067E4: BF8CC17F
	v_mfma_f32_16x16x32_fp8_fp8 v[192:195], a[76:77], v[140:141], v[192:195]// 0000000067E8: D3F300C0 0F03194C
	s_waitcnt lgkmcnt(0)                                       // 0000000067F0: BF8CC07F
	v_mfma_f32_16x16x32_fp8_fp8 v[192:195], a[78:79], v[142:143], v[192:195]// 0000000067F4: D3F300C0 0F031D4E
	v_mfma_f32_16x16x32_fp8_fp8 v[196:199], a[80:81], v[128:129], 0// 0000000067FC: D3F300C4 0A030150
	v_mfma_f32_16x16x32_fp8_fp8 v[196:199], a[82:83], v[130:131], v[196:199]// 000000006804: D3F300C4 0F130552
	buffer_load_dwordx4 a[120:123], v39, s[20:23], 0 offen offset:1024// 00000000680C: E05C1400 80857827
	v_mfma_f32_16x16x32_fp8_fp8 v[196:199], a[84:85], v[132:133], v[196:199]// 000000006814: D3F300C4 0F130954
	v_mfma_f32_16x16x32_fp8_fp8 v[196:199], a[86:87], v[134:135], v[196:199]// 00000000681C: D3F300C4 0F130D56
	v_mfma_f32_16x16x32_fp8_fp8 v[196:199], a[88:89], v[136:137], v[196:199]// 000000006824: D3F300C4 0F131158
	v_mfma_f32_16x16x32_fp8_fp8 v[196:199], a[90:91], v[138:139], v[196:199]// 00000000682C: D3F300C4 0F13155A
	buffer_load_dwordx4 a[124:127], v40, s[20:23], 0 offen offset:1024// 000000006834: E05C1400 80857C28
	v_mfma_f32_16x16x32_fp8_fp8 v[196:199], a[92:93], v[140:141], v[196:199]// 00000000683C: D3F300C4 0F13195C
	s_lshr_b32 s57, s70, 4                                     // 000000006844: 8F398446
	s_add_u32 s57, 48, s57                                     // 000000006848: 803939B0
	v_mfma_f32_16x16x32_fp8_fp8 v[196:199], a[94:95], v[142:143], v[196:199]// 00000000684C: D3F300C4 0F131D5E
	s_cmp_ge_u32 s57, s73                                      // 000000006854: BF094939
	s_cselect_b32 s56, 0, s56                                  // 000000006858: 85383880
	v_add_u32_e32 v1, s56, v1                                  // 00000000685C: 68020238
	s_addk_i32 s70, 0x100                                      // 000000006860: B7460100
	s_cmp_lt_i32 s70, s71                                      // 000000006864: BF044746
	s_cbranch_scc0 label_13EA                                  // 000000006868: BF84024F
	s_waitcnt vmcnt(8) lgkmcnt(0)                              // 00000000686C: BF8C0078
	v_mul_u32_u24_dpp v41, v19, v68 row_newbcast:0 row_mask:0xf bank_mask:0xf// 000000006870: 105288FA FF015013
	v_mul_u32_u24_dpp v42, v19, v68 row_newbcast:4 row_mask:0xf bank_mask:0xf// 000000006878: 105488FA FF015413
	v_mul_u32_u24_dpp v43, v19, v68 row_newbcast:8 row_mask:0xf bank_mask:0xf// 000000006880: 105688FA FF015813
	v_mul_u32_u24_dpp v44, v19, v68 row_newbcast:12 row_mask:0xf bank_mask:0xf// 000000006888: 105888FA FF015C13
	v_add_u32_e32 v25, v41, v6                                 // 000000006890: 68320D29
	v_add_u32_e32 v26, v42, v6                                 // 000000006894: 68340D2A
	v_add_u32_e32 v27, v43, v6                                 // 000000006898: 68360D2B
	v_add_u32_e32 v28, v44, v6                                 // 00000000689C: 68380D2C
	v_mul_u32_u24_dpp v41, v19, v78 quad_perm:[0,0,0,0] row_mask:0xf bank_mask:0xf// 0000000068A0: 10529CFA FF000013
	v_add_u32_e32 v2, v41, v74                                 // 0000000068A8: 68049529
	v_mul_u32_u24_dpp v41, v19, v78 quad_perm:[0,0,0,0] row_mask:0xf bank_mask:0xf// 0000000068AC: 10529CFA FF000013
	v_add_u32_e32 v70, v41, v75                                // 0000000068B4: 688C9729
	v_mfma_f32_16x16x32_fp8_fp8 v[128:131], a[32:33], v[96:97], 0// 0000000068B8: D3F30080 0A02C120
	v_mfma_f32_16x16x32_fp8_fp8 v[128:131], a[34:35], v[98:99], v[128:131]// 0000000068C0: D3F30080 0E02C522
	buffer_load_dwordx4 a[0:3], v25, s[16:19], 0 offen         // 0000000068C8: E05C1000 80840019
	v_mfma_f32_16x16x32_fp8_fp8 v[128:131], a[36:37], v[100:101], v[128:131]// 0000000068D0: D3F30080 0E02C924
	v_mfma_f32_16x16x32_fp8_fp8 v[128:131], a[38:39], v[102:103], v[128:131]// 0000000068D8: D3F30080 0E02CD26
	buffer_load_dword v20, v1, s[24:27], 0 offen               // 0000000068E0: E0501000 80061401
	v_mfma_f32_16x16x32_fp8_fp8 v[132:135], a[40:41], v[96:97], 0// 0000000068E8: D3F30084 0A02C128
	v_mfma_f32_16x16x32_fp8_fp8 v[132:135], a[42:43], v[98:99], v[132:135]// 0000000068F0: D3F30084 0E12C52A
	buffer_load_dwordx4 a[4:7], v25, s[16:19], 0 offen offset:1024// 0000000068F8: E05C1400 80840419
	v_mfma_f32_16x16x32_fp8_fp8 v[132:135], a[44:45], v[100:101], v[132:135]// 000000006900: D3F30084 0E12C92C
	v_mfma_f32_16x16x32_fp8_fp8 v[132:135], a[46:47], v[102:103], v[132:135]// 000000006908: D3F30084 0E12CD2E
	v_mfma_f32_16x16x32_fp8_fp8 v[136:139], a[48:49], v[96:97], 0// 000000006910: D3F30088 0A02C130
	v_mfma_f32_16x16x32_fp8_fp8 v[136:139], a[50:51], v[98:99], v[136:139]// 000000006918: D3F30088 0E22C532
	buffer_load_dwordx4 a[8:11], v26, s[16:19], 0 offen        // 000000006920: E05C1000 8084081A
	v_mfma_f32_16x16x32_fp8_fp8 v[136:139], a[52:53], v[100:101], v[136:139]// 000000006928: D3F30088 0E22C934
	v_mfma_f32_16x16x32_fp8_fp8 v[136:139], a[54:55], v[102:103], v[136:139]// 000000006930: D3F30088 0E22CD36
	v_mfma_f32_16x16x32_fp8_fp8 v[140:143], a[56:57], v[96:97], 0// 000000006938: D3F3008C 0A02C138
	v_mfma_f32_16x16x32_fp8_fp8 v[140:143], a[58:59], v[98:99], v[140:143]// 000000006940: D3F3008C 0E32C53A
	buffer_load_dwordx4 a[12:15], v26, s[16:19], 0 offen offset:1024// 000000006948: E05C1400 80840C1A
	v_mfma_f32_16x16x32_fp8_fp8 v[140:143], a[60:61], v[100:101], v[140:143]// 000000006950: D3F3008C 0E32C93C
	v_mfma_f32_16x16x32_fp8_fp8 v[140:143], a[62:63], v[102:103], v[140:143]// 000000006958: D3F3008C 0E32CD3E
	buffer_load_dword v52, v2, s[32:35], 0 offen               // 000000006960: E0501000 80083402
	v_mov_b32_dpp v41, v53 row_shr:4 row_mask:0xf bank_mask:0xf// 000000006968: 7E5202FA FF011435
	v_mov_b32_dpp v42, v53 row_shl:4 row_mask:0xf bank_mask:0xf// 000000006970: 7E5402FA FF010435
	v_cndmask_b32_e64 v248, v53, v41, s[44:45]                 // 000000006978: D10000F8 00B25335
	v_cndmask_b32_e64 v249, v42, v53, s[44:45]                 // 000000006980: D10000F9 00B26B2A
	v_mov_b32_dpp v41, v248 row_shr:8 row_mask:0xf bank_mask:0xf// 000000006988: 7E5202FA FF0118F8
	v_mov_b32_dpp v42, v248 row_shl:8 row_mask:0xf bank_mask:0xf// 000000006990: 7E5402FA FF0108F8
	v_mov_b32_dpp v43, v249 row_shr:8 row_mask:0xf bank_mask:0xf// 000000006998: 7E5602FA FF0118F9
	v_mov_b32_dpp v44, v249 row_shl:8 row_mask:0xf bank_mask:0xf// 0000000069A0: 7E5802FA FF0108F9
	v_mov_b32_e32 v45, v248                                    // 0000000069A8: 7E5A03F8
	v_mov_b32_e32 v46, v249                                    // 0000000069AC: 7E5C03F9
	v_cndmask_b32_e64 v248, v45, v41, s[42:43]                 // 0000000069B0: D10000F8 00AA532D
	v_cndmask_b32_e64 v250, v45, v42, s[78:79]                 // 0000000069B8: D10000FA 013A552D
	v_cndmask_b32_e64 v249, v46, v43, s[42:43]                 // 0000000069C0: D10000F9 00AA572E
	v_cndmask_b32_e64 v251, v46, v44, s[78:79]                 // 0000000069C8: D10000FB 013A592E
	v_mov_b32_dpp v41, v73 row_shr:4 row_mask:0xf bank_mask:0xf// 0000000069D0: 7E5202FA FF011449
	v_mov_b32_dpp v42, v73 row_shl:4 row_mask:0xf bank_mask:0xf// 0000000069D8: 7E5402FA FF010449
	v_cndmask_b32_e64 v252, v73, v41, s[44:45]                 // 0000000069E0: D10000FC 00B25349
	v_cndmask_b32_e64 v253, v42, v73, s[44:45]                 // 0000000069E8: D10000FD 00B2932A
	v_mov_b32_dpp v41, v252 row_shr:8 row_mask:0xf bank_mask:0xf// 0000000069F0: 7E5202FA FF0118FC
	v_mov_b32_dpp v42, v252 row_shl:8 row_mask:0xf bank_mask:0xf// 0000000069F8: 7E5402FA FF0108FC
	v_mov_b32_dpp v43, v253 row_shr:8 row_mask:0xf bank_mask:0xf// 000000006A00: 7E5602FA FF0118FD
	v_mov_b32_dpp v44, v253 row_shl:8 row_mask:0xf bank_mask:0xf// 000000006A08: 7E5802FA FF0108FD
	v_mov_b32_e32 v45, v252                                    // 000000006A10: 7E5A03FC
	v_mov_b32_e32 v46, v253                                    // 000000006A14: 7E5C03FD
	v_cndmask_b32_e64 v252, v45, v41, s[42:43]                 // 000000006A18: D10000FC 00AA532D
	v_cndmask_b32_e64 v254, v45, v42, s[78:79]                 // 000000006A20: D10000FE 013A552D
	v_cndmask_b32_e64 v253, v46, v43, s[42:43]                 // 000000006A28: D10000FD 00AA572E
	v_cndmask_b32_e64 v255, v46, v44, s[78:79]                 // 000000006A30: D10000FF 013A592E
	buffer_load_dword v72, v70, s[36:39], 0 offen              // 000000006A38: E0501000 80094846
	v_mul_f32_e32 v128, v54, v128                              // 000000006A40: 0B010136
	v_mul_f32_e32 v129, v54, v129                              // 000000006A44: 0B030336
	v_mul_f32_e32 v130, v54, v130                              // 000000006A48: 0B050536
	v_mul_f32_e32 v131, v54, v131                              // 000000006A4C: 0B070736
	v_mul_f32_e32 v132, v54, v132                              // 000000006A50: 0B090936
	v_mul_f32_e32 v133, v54, v133                              // 000000006A54: 0B0B0B36
	v_mul_f32_e32 v134, v54, v134                              // 000000006A58: 0B0D0D36
	v_mul_f32_e32 v135, v54, v135                              // 000000006A5C: 0B0F0F36
	v_mul_f32_e32 v136, v54, v136                              // 000000006A60: 0B111136
	v_mul_f32_e32 v137, v54, v137                              // 000000006A64: 0B131336
	v_mul_f32_e32 v138, v54, v138                              // 000000006A68: 0B151536
	v_mul_f32_e32 v139, v54, v139                              // 000000006A6C: 0B171736
	v_mul_f32_e32 v140, v54, v140                              // 000000006A70: 0B191936
	v_mul_f32_e32 v141, v54, v141                              // 000000006A74: 0B1B1B36
	v_mul_f32_e32 v142, v54, v142                              // 000000006A78: 0B1D1D36
	v_mul_f32_e32 v143, v54, v143                              // 000000006A7C: 0B1F1F36
	buffer_load_dwordx4 a[16:19], v27, s[16:19], 0 offen       // 000000006A80: E05C1000 8084101B
	v_mul_f32_dpp v128, v248, v128 quad_perm:[0,0,0,0] row_mask:0xf bank_mask:0xf// 000000006A88: 0B0100FA FF0000F8
	v_mul_f32_dpp v129, v248, v129 quad_perm:[1,1,1,1] row_mask:0xf bank_mask:0xf// 000000006A90: 0B0302FA FF0055F8
	v_mul_f32_dpp v130, v248, v130 quad_perm:[2,2,2,2] row_mask:0xf bank_mask:0xf// 000000006A98: 0B0504FA FF00AAF8
	v_mul_f32_dpp v131, v248, v131 quad_perm:[3,3,3,3] row_mask:0xf bank_mask:0xf// 000000006AA0: 0B0706FA FF00FFF8
	v_mul_f32_dpp v132, v249, v132 quad_perm:[0,0,0,0] row_mask:0xf bank_mask:0xf// 000000006AA8: 0B0908FA FF0000F9
	v_mul_f32_dpp v133, v249, v133 quad_perm:[1,1,1,1] row_mask:0xf bank_mask:0xf// 000000006AB0: 0B0B0AFA FF0055F9
	v_mul_f32_dpp v134, v249, v134 quad_perm:[2,2,2,2] row_mask:0xf bank_mask:0xf// 000000006AB8: 0B0D0CFA FF00AAF9
	v_mul_f32_dpp v135, v249, v135 quad_perm:[3,3,3,3] row_mask:0xf bank_mask:0xf// 000000006AC0: 0B0F0EFA FF00FFF9
	v_mul_f32_dpp v136, v250, v136 quad_perm:[0,0,0,0] row_mask:0xf bank_mask:0xf// 000000006AC8: 0B1110FA FF0000FA
	v_mul_f32_dpp v137, v250, v137 quad_perm:[1,1,1,1] row_mask:0xf bank_mask:0xf// 000000006AD0: 0B1312FA FF0055FA
	v_mul_f32_dpp v138, v250, v138 quad_perm:[2,2,2,2] row_mask:0xf bank_mask:0xf// 000000006AD8: 0B1514FA FF00AAFA
	v_mul_f32_dpp v139, v250, v139 quad_perm:[3,3,3,3] row_mask:0xf bank_mask:0xf// 000000006AE0: 0B1716FA FF00FFFA
	v_mul_f32_dpp v140, v251, v140 quad_perm:[0,0,0,0] row_mask:0xf bank_mask:0xf// 000000006AE8: 0B1918FA FF0000FB
	v_mul_f32_dpp v141, v251, v141 quad_perm:[1,1,1,1] row_mask:0xf bank_mask:0xf// 000000006AF0: 0B1B1AFA FF0055FB
	v_mul_f32_dpp v142, v251, v142 quad_perm:[2,2,2,2] row_mask:0xf bank_mask:0xf// 000000006AF8: 0B1D1CFA FF00AAFB
	v_mul_f32_dpp v143, v251, v143 quad_perm:[3,3,3,3] row_mask:0xf bank_mask:0xf// 000000006B00: 0B1F1EFA FF00FFFB
	buffer_load_dwordx4 a[20:23], v27, s[16:19], 0 offen offset:1024// 000000006B08: E05C1400 8084141B
	v_mov_b32_e32 v62, v128                                    // 000000006B10: 7E7C0380
	v_max3_f32 v62, v128, v129, v62                            // 000000006B14: D1D3003E 04FB0380
	v_max3_f32 v62, v130, v131, v62                            // 000000006B1C: D1D3003E 04FB0782
	v_max3_f32 v62, v132, v133, v62                            // 000000006B24: D1D3003E 04FB0B84
	v_max3_f32 v62, v134, v135, v62                            // 000000006B2C: D1D3003E 04FB0F86
	v_max3_f32 v62, v136, v137, v62                            // 000000006B34: D1D3003E 04FB1388
	v_max3_f32 v62, v138, v139, v62                            // 000000006B3C: D1D3003E 04FB178A
	v_max3_f32 v62, v140, v141, v62                            // 000000006B44: D1D3003E 04FB1B8C
	v_max3_f32 v62, v142, v143, v62                            // 000000006B4C: D1D3003E 04FB1F8E
	ds_write_b32 v11, v62 offset:16896                         // 000000006B54: D81A4200 00003E0B
	buffer_load_dwordx4 a[24:27], v28, s[16:19], 0 offen       // 000000006B5C: E05C1000 8084181C
	v_mul_u32_u24_dpp v41, v19, v68 row_newbcast:1 row_mask:0xf bank_mask:0xf// 000000006B64: 105288FA FF015113
	v_mul_u32_u24_dpp v42, v19, v68 row_newbcast:5 row_mask:0xf bank_mask:0xf// 000000006B6C: 105488FA FF015513
	v_mul_u32_u24_dpp v43, v19, v68 row_newbcast:9 row_mask:0xf bank_mask:0xf// 000000006B74: 105688FA FF015913
	v_mul_u32_u24_dpp v44, v19, v68 row_newbcast:13 row_mask:0xf bank_mask:0xf// 000000006B7C: 105888FA FF015D13
	v_add_u32_e32 v33, v41, v7                                 // 000000006B84: 68420F29
	v_add_u32_e32 v34, v42, v7                                 // 000000006B88: 68440F2A
	v_add_u32_e32 v35, v43, v7                                 // 000000006B8C: 68460F2B
	v_add_u32_e32 v36, v44, v7                                 // 000000006B90: 68480F2C
	v_mul_f32_e32 v224, v63, v224                              // 000000006B94: 0BC1C13F
	v_mul_f32_e32 v225, v63, v225                              // 000000006B98: 0BC3C33F
	v_mul_f32_e32 v226, v63, v226                              // 000000006B9C: 0BC5C53F
	v_mul_f32_e32 v227, v63, v227                              // 000000006BA0: 0BC7C73F
	v_mul_f32_e32 v228, v63, v228                              // 000000006BA4: 0BC9C93F
	v_mul_f32_e32 v229, v63, v229                              // 000000006BA8: 0BCBCB3F
	v_mul_f32_e32 v230, v63, v230                              // 000000006BAC: 0BCDCD3F
	v_mul_f32_e32 v231, v63, v231                              // 000000006BB0: 0BCFCF3F
	s_waitcnt lgkmcnt(0)                                       // 000000006BB4: BF8CC07F
	s_barrier                                                  // 000000006BB8: BF8A0000
	ds_read_b32 v80, v10 offset:16896                          // 000000006BBC: D86C4200 5000000A
	ds_read_b32 v81, v10 offset:16960                          // 000000006BC4: D86C4240 5100000A
	ds_read_b32 v82, v10 offset:17024                          // 000000006BCC: D86C4280 5200000A
	ds_read_b32 v83, v10 offset:17088                          // 000000006BD4: D86C42C0 5300000A
	ds_read_b32 v84, v10 offset:17152                          // 000000006BDC: D86C4300 5400000A
	ds_read_b32 v85, v10 offset:17216                          // 000000006BE4: D86C4340 5500000A
	ds_read_b32 v86, v10 offset:17280                          // 000000006BEC: D86C4380 5600000A
	ds_read_b32 v87, v10 offset:17344                          // 000000006BF4: D86C43C0 5700000A
	ds_read_b32 v88, v10 offset:17408                          // 000000006BFC: D86C4400 5800000A
	ds_read_b32 v89, v10 offset:17472                          // 000000006C04: D86C4440 5900000A
	ds_read_b32 v90, v10 offset:17536                          // 000000006C0C: D86C4480 5A00000A
	ds_read_b32 v91, v10 offset:17600                          // 000000006C14: D86C44C0 5B00000A
	ds_read_b32 v92, v10 offset:17664                          // 000000006C1C: D86C4500 5C00000A
	ds_read_b32 v93, v10 offset:17728                          // 000000006C24: D86C4540 5D00000A
	ds_read_b32 v94, v10 offset:17792                          // 000000006C2C: D86C4580 5E00000A
	ds_read_b32 v95, v10 offset:17856                          // 000000006C34: D86C45C0 5F00000A
	buffer_load_dwordx4 a[28:31], v28, s[16:19], 0 offen offset:1024// 000000006C3C: E05C1400 80841C1C
	v_mul_f32_e32 v192, v58, v192                              // 000000006C44: 0B81813A
	v_mul_f32_e32 v193, v58, v193                              // 000000006C48: 0B83833A
	v_mul_f32_e32 v194, v58, v194                              // 000000006C4C: 0B85853A
	v_mul_f32_e32 v195, v58, v195                              // 000000006C50: 0B87873A
	v_mul_f32_e32 v196, v58, v196                              // 000000006C54: 0B89893A
	v_mul_f32_e32 v197, v58, v197                              // 000000006C58: 0B8B8B3A
	v_mul_f32_e32 v198, v58, v198                              // 000000006C5C: 0B8D8D3A
	v_mul_f32_e32 v199, v58, v199                              // 000000006C60: 0B8F8F3A
	s_waitcnt lgkmcnt(0)                                       // 000000006C64: BF8CC07F
	v_max3_f32 v62, v80, v81, v62                              // 000000006C68: D1D3003E 04FAA350
	v_max3_f32 v62, v82, v83, v62                              // 000000006C70: D1D3003E 04FAA752
	v_max3_f32 v62, v84, v85, v62                              // 000000006C78: D1D3003E 04FAAB54
	v_max3_f32 v62, v86, v87, v62                              // 000000006C80: D1D3003E 04FAAF56
	v_max3_f32 v62, v88, v89, v62                              // 000000006C88: D1D3003E 04FAB358
	v_max3_f32 v62, v90, v91, v62                              // 000000006C90: D1D3003E 04FAB75A
	v_max3_f32 v62, v92, v93, v62                              // 000000006C98: D1D3003E 04FABB5C
	v_max3_f32 v62, v94, v95, v62                              // 000000006CA0: D1D3003E 04FABF5E
	buffer_load_dwordx4 a[64:67], v33, s[20:23], 0 offen       // 000000006CA8: E05C1000 80854021
	v_mov_b32_e32 v41, 0xff800000                              // 000000006CB0: 7E5202FF FF800000
	v_cmp_eq_u32_e64 s[40:41], v41, v14                        // 000000006CB8: D0CA0028 00021D29
	s_nop 1                                                    // 000000006CC0: BF800001
	v_max_f32_e32 v18, v62, v14                                // 000000006CC4: 16241D3E
	v_mul_f32_e32 v67, s64, v18                                // 000000006CC8: 0A862440
	v_fma_f32 v128, v128, s64, -v67                            // 000000006CCC: D1CB0080 850C8180
	v_fma_f32 v129, v129, s64, -v67                            // 000000006CD4: D1CB0081 850C8181
	v_fma_f32 v130, v130, s64, -v67                            // 000000006CDC: D1CB0082 850C8182
	v_fma_f32 v131, v131, s64, -v67                            // 000000006CE4: D1CB0083 850C8183
	v_fma_f32 v132, v132, s64, -v67                            // 000000006CEC: D1CB0084 850C8184
	v_fma_f32 v133, v133, s64, -v67                            // 000000006CF4: D1CB0085 850C8185
	v_fma_f32 v134, v134, s64, -v67                            // 000000006CFC: D1CB0086 850C8186
	v_fma_f32 v135, v135, s64, -v67                            // 000000006D04: D1CB0087 850C8187
	v_fma_f32 v136, v136, s64, -v67                            // 000000006D0C: D1CB0088 850C8188
	v_fma_f32 v137, v137, s64, -v67                            // 000000006D14: D1CB0089 850C8189
	v_fma_f32 v138, v138, s64, -v67                            // 000000006D1C: D1CB008A 850C818A
	v_fma_f32 v139, v139, s64, -v67                            // 000000006D24: D1CB008B 850C818B
	v_fma_f32 v140, v140, s64, -v67                            // 000000006D2C: D1CB008C 850C818C
	v_fma_f32 v141, v141, s64, -v67                            // 000000006D34: D1CB008D 850C818D
	v_fma_f32 v142, v142, s64, -v67                            // 000000006D3C: D1CB008E 850C818E
	v_fma_f32 v143, v143, s64, -v67                            // 000000006D44: D1CB008F 850C818F
	buffer_load_dwordx4 a[68:71], v34, s[20:23], 0 offen       // 000000006D4C: E05C1000 80854422
	v_exp_f32_e32 v128, v128                                   // 000000006D54: 7F004180
	v_exp_f32_e32 v129, v129                                   // 000000006D58: 7F024181
	v_exp_f32_e32 v130, v130                                   // 000000006D5C: 7F044182
	v_exp_f32_e32 v131, v131                                   // 000000006D60: 7F064183
	v_exp_f32_e32 v132, v132                                   // 000000006D64: 7F084184
	v_exp_f32_e32 v133, v133                                   // 000000006D68: 7F0A4185
	v_exp_f32_e32 v134, v134                                   // 000000006D6C: 7F0C4186
	v_exp_f32_e32 v135, v135                                   // 000000006D70: 7F0E4187
	v_exp_f32_e32 v136, v136                                   // 000000006D74: 7F104188
	v_exp_f32_e32 v137, v137                                   // 000000006D78: 7F124189
	v_exp_f32_e32 v138, v138                                   // 000000006D7C: 7F14418A
	v_exp_f32_e32 v139, v139                                   // 000000006D80: 7F16418B
	v_exp_f32_e32 v140, v140                                   // 000000006D84: 7F18418C
	v_exp_f32_e32 v141, v141                                   // 000000006D88: 7F1A418D
	v_exp_f32_e32 v142, v142                                   // 000000006D8C: 7F1C418E
	v_exp_f32_e32 v143, v143                                   // 000000006D90: 7F1E418F
	buffer_load_dwordx4 a[72:75], v35, s[20:23], 0 offen       // 000000006D94: E05C1000 80854823
	v_mul_f32_dpp v240, v252, v128 quad_perm:[0,0,0,0] row_mask:0xf bank_mask:0xf// 000000006D9C: 0BE100FA FF0000FC
	v_mul_f32_dpp v241, v252, v129 quad_perm:[1,1,1,1] row_mask:0xf bank_mask:0xf// 000000006DA4: 0BE302FA FF0055FC
	v_mul_f32_dpp v242, v252, v130 quad_perm:[2,2,2,2] row_mask:0xf bank_mask:0xf// 000000006DAC: 0BE504FA FF00AAFC
	v_mul_f32_dpp v243, v252, v131 quad_perm:[3,3,3,3] row_mask:0xf bank_mask:0xf// 000000006DB4: 0BE706FA FF00FFFC
	v_mul_f32_dpp v244, v253, v132 quad_perm:[0,0,0,0] row_mask:0xf bank_mask:0xf// 000000006DBC: 0BE908FA FF0000FD
	v_mul_f32_dpp v245, v253, v133 quad_perm:[1,1,1,1] row_mask:0xf bank_mask:0xf// 000000006DC4: 0BEB0AFA FF0055FD
	v_mul_f32_dpp v246, v253, v134 quad_perm:[2,2,2,2] row_mask:0xf bank_mask:0xf// 000000006DCC: 0BED0CFA FF00AAFD
	v_mul_f32_dpp v247, v253, v135 quad_perm:[3,3,3,3] row_mask:0xf bank_mask:0xf// 000000006DD4: 0BEF0EFA FF00FFFD
	v_mul_f32_dpp v248, v254, v136 quad_perm:[0,0,0,0] row_mask:0xf bank_mask:0xf// 000000006DDC: 0BF110FA FF0000FE
	v_mul_f32_dpp v249, v254, v137 quad_perm:[1,1,1,1] row_mask:0xf bank_mask:0xf// 000000006DE4: 0BF312FA FF0055FE
	v_mul_f32_dpp v250, v254, v138 quad_perm:[2,2,2,2] row_mask:0xf bank_mask:0xf// 000000006DEC: 0BF514FA FF00AAFE
	v_mul_f32_dpp v251, v254, v139 quad_perm:[3,3,3,3] row_mask:0xf bank_mask:0xf// 000000006DF4: 0BF716FA FF00FFFE
	v_mul_f32_dpp v252, v255, v140 quad_perm:[0,0,0,0] row_mask:0xf bank_mask:0xf// 000000006DFC: 0BF918FA FF0000FF
	v_mul_f32_dpp v253, v255, v141 quad_perm:[1,1,1,1] row_mask:0xf bank_mask:0xf// 000000006E04: 0BFB1AFA FF0055FF
	v_mul_f32_dpp v254, v255, v142 quad_perm:[2,2,2,2] row_mask:0xf bank_mask:0xf// 000000006E0C: 0BFD1CFA FF00AAFF
	v_mul_f32_dpp v255, v255, v143 quad_perm:[3,3,3,3] row_mask:0xf bank_mask:0xf// 000000006E14: 0BFF1EFA FF00FFFF
	v_mov_b32_e32 v62, 0x358637bd                              // 000000006E1C: 7E7C02FF 358637BD
	v_max3_f32 v62, |v240|, |v241|, v62                        // 000000006E24: D1D3033E 04FBE3F0
	v_max3_f32 v62, |v242|, |v243|, v62                        // 000000006E2C: D1D3033E 04FBE7F2
	v_max3_f32 v62, |v244|, |v245|, v62                        // 000000006E34: D1D3033E 04FBEBF4
	v_max3_f32 v62, |v246|, |v247|, v62                        // 000000006E3C: D1D3033E 04FBEFF6
	v_max3_f32 v62, |v248|, |v249|, v62                        // 000000006E44: D1D3033E 04FBF3F8
	v_max3_f32 v62, |v250|, |v251|, v62                        // 000000006E4C: D1D3033E 04FBF7FA
	v_max3_f32 v62, |v252|, |v253|, v62                        // 000000006E54: D1D3033E 04FBFBFC
	v_max3_f32 v62, |v254|, |v255|, v62                        // 000000006E5C: D1D3033E 04FBFFFE
	buffer_load_dwordx4 a[76:79], v36, s[20:23], 0 offen       // 000000006E64: E05C1000 80854C24
	ds_write_b32 v11, v62 offset:20992                         // 000000006E6C: D81A5200 00003E0B
	v_sub_f32_e32 v63, v14, v18                                // 000000006E74: 047E250E
	v_cndmask_b32_e64 v63, v63, 0, s[40:41]                    // 000000006E78: D100003F 00A1013F
	v_mov_b32_e32 v14, v18                                     // 000000006E80: 7E1C0312
	v_mul_f32_e32 v63, s64, v63                                // 000000006E84: 0A7E7E40
	v_exp_f32_e32 v63, v63                                     // 000000006E88: 7E7E413F
	s_waitcnt lgkmcnt(0)                                       // 000000006E8C: BF8CC07F
	s_barrier                                                  // 000000006E90: BF8A0000
	ds_read_b32 v80, v10 offset:20992                          // 000000006E94: D86C5200 5000000A
	ds_read_b32 v81, v10 offset:21056                          // 000000006E9C: D86C5240 5100000A
	ds_read_b32 v82, v10 offset:21120                          // 000000006EA4: D86C5280 5200000A
	ds_read_b32 v83, v10 offset:21184                          // 000000006EAC: D86C52C0 5300000A
	ds_read_b32 v84, v10 offset:21248                          // 000000006EB4: D86C5300 5400000A
	ds_read_b32 v85, v10 offset:21312                          // 000000006EBC: D86C5340 5500000A
	ds_read_b32 v86, v10 offset:21376                          // 000000006EC4: D86C5380 5600000A
	ds_read_b32 v87, v10 offset:21440                          // 000000006ECC: D86C53C0 5700000A
	ds_read_b32 v88, v10 offset:21504                          // 000000006ED4: D86C5400 5800000A
	ds_read_b32 v89, v10 offset:21568                          // 000000006EDC: D86C5440 5900000A
	ds_read_b32 v90, v10 offset:21632                          // 000000006EE4: D86C5480 5A00000A
	ds_read_b32 v91, v10 offset:21696                          // 000000006EEC: D86C54C0 5B00000A
	ds_read_b32 v92, v10 offset:21760                          // 000000006EF4: D86C5500 5C00000A
	ds_read_b32 v93, v10 offset:21824                          // 000000006EFC: D86C5540 5D00000A
	ds_read_b32 v94, v10 offset:21888                          // 000000006F04: D86C5580 5E00000A
	ds_read_b32 v95, v10 offset:21952                          // 000000006F0C: D86C55C0 5F00000A
	v_mul_f32_e32 v47, v63, v47                                // 000000006F14: 0A5E5F3F
	v_mov_b32_e32 v18, v128                                    // 000000006F18: 7E240380
	v_add_f32_e32 v18, v129, v18                               // 000000006F1C: 02242581
	v_add_f32_e32 v18, v130, v18                               // 000000006F20: 02242582
	v_add_f32_e32 v18, v131, v18                               // 000000006F24: 02242583
	v_add_f32_e32 v18, v132, v18                               // 000000006F28: 02242584
	v_add_f32_e32 v18, v133, v18                               // 000000006F2C: 02242585
	v_add_f32_e32 v18, v134, v18                               // 000000006F30: 02242586
	v_add_f32_e32 v18, v135, v18                               // 000000006F34: 02242587
	v_add_f32_e32 v18, v136, v18                               // 000000006F38: 02242588
	v_add_f32_e32 v18, v137, v18                               // 000000006F3C: 02242589
	v_add_f32_e32 v18, v138, v18                               // 000000006F40: 0224258A
	v_add_f32_e32 v18, v139, v18                               // 000000006F44: 0224258B
	v_add_f32_e32 v18, v140, v18                               // 000000006F48: 0224258C
	v_add_f32_e32 v18, v141, v18                               // 000000006F4C: 0224258D
	v_add_f32_e32 v18, v142, v18                               // 000000006F50: 0224258E
	v_add_f32_e32 v18, v143, v18                               // 000000006F54: 0224258F
	v_add_f32_e32 v47, v18, v47                                // 000000006F58: 025E5F12
	s_waitcnt lgkmcnt(0)                                       // 000000006F5C: BF8CC07F
	v_max3_f32 v62, |v80|, |v81|, v62                          // 000000006F60: D1D3033E 04FAA350
	v_max3_f32 v62, |v82|, |v83|, v62                          // 000000006F68: D1D3033E 04FAA752
	v_max3_f32 v62, |v84|, |v85|, v62                          // 000000006F70: D1D3033E 04FAAB54
	v_max3_f32 v62, |v86|, |v87|, v62                          // 000000006F78: D1D3033E 04FAAF56
	v_max3_f32 v62, |v88|, |v89|, v62                          // 000000006F80: D1D3033E 04FAB358
	v_max3_f32 v62, |v90|, |v91|, v62                          // 000000006F88: D1D3033E 04FAB75A
	v_max3_f32 v62, |v92|, |v93|, v62                          // 000000006F90: D1D3033E 04FABB5C
	v_max3_f32 v62, |v94|, |v95|, v62                          // 000000006F98: D1D3033E 04FABF5E
	s_nop 2                                                    // 000000006FA0: BF800002
	v_rcp_f32_e32 v62, v62                                     // 000000006FA4: 7E7C453E
	s_nop 1                                                    // 000000006FA8: BF800001
	v_mul_f32_e32 v62, 0x43700000, v62                         // 000000006FAC: 0A7C7CFF 43700000
	v_mul_f32_e32 v128, v62, v240                              // 000000006FB4: 0B01E13E
	v_mul_f32_e32 v129, v62, v241                              // 000000006FB8: 0B03E33E
	v_mul_f32_e32 v130, v62, v242                              // 000000006FBC: 0B05E53E
	v_mul_f32_e32 v131, v62, v243                              // 000000006FC0: 0B07E73E
	v_mul_f32_e32 v132, v62, v244                              // 000000006FC4: 0B09E93E
	v_mul_f32_e32 v133, v62, v245                              // 000000006FC8: 0B0BEB3E
	v_mul_f32_e32 v134, v62, v246                              // 000000006FCC: 0B0DED3E
	v_mul_f32_e32 v135, v62, v247                              // 000000006FD0: 0B0FEF3E
	v_mul_f32_e32 v136, v62, v248                              // 000000006FD4: 0B11F13E
	v_mul_f32_e32 v137, v62, v249                              // 000000006FD8: 0B13F33E
	v_mul_f32_e32 v138, v62, v250                              // 000000006FDC: 0B15F53E
	v_mul_f32_e32 v139, v62, v251                              // 000000006FE0: 0B17F73E
	v_mul_f32_e32 v140, v62, v252                              // 000000006FE4: 0B19F93E
	v_mul_f32_e32 v141, v62, v253                              // 000000006FE8: 0B1BFB3E
	v_mul_f32_e32 v142, v62, v254                              // 000000006FEC: 0B1DFD3E
	v_mul_f32_e32 v143, v62, v255                              // 000000006FF0: 0B1FFF3E
	v_cvt_pk_fp8_f32 v128, v128, v129                          // 000000006FF4: D2A20080 00030380
	v_cvt_pk_fp8_f32 v128, v130, v131 op_sel:[0,0,1]           // 000000006FFC: D2A24080 00030782
	v_cvt_pk_fp8_f32 v129, v132, v133                          // 000000007004: D2A20081 00030B84
	v_cvt_pk_fp8_f32 v129, v134, v135 op_sel:[0,0,1]           // 00000000700C: D2A24081 00030F86
	v_cvt_pk_fp8_f32 v130, v136, v137                          // 000000007014: D2A20082 00031388
	v_cvt_pk_fp8_f32 v130, v138, v139 op_sel:[0,0,1]           // 00000000701C: D2A24082 0003178A
	v_cvt_pk_fp8_f32 v131, v140, v141                          // 000000007024: D2A20083 00031B8C
	v_cvt_pk_fp8_f32 v131, v142, v143 op_sel:[0,0,1]           // 00000000702C: D2A24083 00031F8E
	ds_write_b32 v13, v128 offset:25088                        // 000000007034: D81A6200 0000800D
	ds_write_b32 v13, v129 offset:26112                        // 00000000703C: D81A6600 0000810D
	ds_write_b32 v13, v130 offset:27136                        // 000000007044: D81A6A00 0000820D
	ds_write_b32 v13, v131 offset:28160                        // 00000000704C: D81A6E00 0000830D
	v_add_f32_e32 v224, v224, v192                             // 000000007054: 03C181E0
	v_add_f32_e32 v225, v225, v193                             // 000000007058: 03C383E1
	v_add_f32_e32 v226, v226, v194                             // 00000000705C: 03C585E2
	v_add_f32_e32 v227, v227, v195                             // 000000007060: 03C787E3
	v_add_f32_e32 v228, v228, v196                             // 000000007064: 03C989E4
	v_add_f32_e32 v229, v229, v197                             // 000000007068: 03CB8BE5
	v_add_f32_e32 v230, v230, v198                             // 00000000706C: 03CD8DE6
	v_add_f32_e32 v231, v231, v199                             // 000000007070: 03CF8FE7
	v_rcp_f32_e32 v58, v62                                     // 000000007074: 7E74453E
	s_waitcnt lgkmcnt(0)                                       // 000000007078: BF8CC07F
	s_barrier                                                  // 00000000707C: BF8A0000
	ds_read_b64 v[128:129], v12 offset:25088                   // 000000007080: D8EC6200 8000000C
	ds_read_b64 v[130:131], v12 offset:25216                   // 000000007088: D8EC6280 8200000C
	ds_read_b64 v[132:133], v12 offset:26112                   // 000000007090: D8EC6600 8400000C
	ds_read_b64 v[134:135], v12 offset:26240                   // 000000007098: D8EC6680 8600000C
	ds_read_b64 v[136:137], v12 offset:27136                   // 0000000070A0: D8EC6A00 8800000C
	ds_read_b64 v[138:139], v12 offset:27264                   // 0000000070A8: D8EC6A80 8A00000C
	ds_read_b64 v[140:141], v12 offset:28160                   // 0000000070B0: D8EC6E00 8C00000C
	ds_read_b64 v[142:143], v12 offset:28288                   // 0000000070B8: D8EC6E80 8E00000C
	s_waitcnt vmcnt(15)                                        // 0000000070C0: BF8C0F7F
	s_waitcnt lgkmcnt(7)                                       // 0000000070C4: BF8CC77F
	v_mfma_f32_16x16x32_fp8_fp8 v[192:195], a[96:97], v[128:129], 0// 0000000070C8: D3F300C0 0A030160
	s_waitcnt lgkmcnt(6)                                       // 0000000070D0: BF8CC67F
	v_mfma_f32_16x16x32_fp8_fp8 v[192:195], a[98:99], v[130:131], v[192:195]// 0000000070D4: D3F300C0 0F030562
	buffer_load_dwordx4 a[80:83], v33, s[20:23], 0 offen offset:1024// 0000000070DC: E05C1400 80855021
	s_waitcnt lgkmcnt(5)                                       // 0000000070E4: BF8CC57F
	v_mfma_f32_16x16x32_fp8_fp8 v[192:195], a[100:101], v[132:133], v[192:195]// 0000000070E8: D3F300C0 0F030964
	s_waitcnt lgkmcnt(4)                                       // 0000000070F0: BF8CC47F
	v_mfma_f32_16x16x32_fp8_fp8 v[192:195], a[102:103], v[134:135], v[192:195]// 0000000070F4: D3F300C0 0F030D66
	s_waitcnt lgkmcnt(3)                                       // 0000000070FC: BF8CC37F
	v_mfma_f32_16x16x32_fp8_fp8 v[192:195], a[104:105], v[136:137], v[192:195]// 000000007100: D3F300C0 0F031168
	s_waitcnt lgkmcnt(2)                                       // 000000007108: BF8CC27F
	v_mfma_f32_16x16x32_fp8_fp8 v[192:195], a[106:107], v[138:139], v[192:195]// 00000000710C: D3F300C0 0F03156A
	buffer_load_dwordx4 a[84:87], v34, s[20:23], 0 offen offset:1024// 000000007114: E05C1400 80855422
	s_waitcnt lgkmcnt(1)                                       // 00000000711C: BF8CC17F
	v_mfma_f32_16x16x32_fp8_fp8 v[192:195], a[108:109], v[140:141], v[192:195]// 000000007120: D3F300C0 0F03196C
	s_waitcnt lgkmcnt(0)                                       // 000000007128: BF8CC07F
	v_mfma_f32_16x16x32_fp8_fp8 v[192:195], a[110:111], v[142:143], v[192:195]// 00000000712C: D3F300C0 0F031D6E
	v_mfma_f32_16x16x32_fp8_fp8 v[196:199], a[112:113], v[128:129], 0// 000000007134: D3F300C4 0A030170
	v_mfma_f32_16x16x32_fp8_fp8 v[196:199], a[114:115], v[130:131], v[196:199]// 00000000713C: D3F300C4 0F130572
	buffer_load_dwordx4 a[88:91], v35, s[20:23], 0 offen offset:1024// 000000007144: E05C1400 80855823
	v_mfma_f32_16x16x32_fp8_fp8 v[196:199], a[116:117], v[132:133], v[196:199]// 00000000714C: D3F300C4 0F130974
	v_mfma_f32_16x16x32_fp8_fp8 v[196:199], a[118:119], v[134:135], v[196:199]// 000000007154: D3F300C4 0F130D76
	v_mfma_f32_16x16x32_fp8_fp8 v[196:199], a[120:121], v[136:137], v[196:199]// 00000000715C: D3F300C4 0F131178
	v_mfma_f32_16x16x32_fp8_fp8 v[196:199], a[122:123], v[138:139], v[196:199]// 000000007164: D3F300C4 0F13157A
	buffer_load_dwordx4 a[92:95], v36, s[20:23], 0 offen offset:1024// 00000000716C: E05C1400 80855C24
	v_mfma_f32_16x16x32_fp8_fp8 v[196:199], a[124:125], v[140:141], v[196:199]// 000000007174: D3F300C4 0F13197C
	s_lshr_b32 s57, s70, 4                                     // 00000000717C: 8F398446
	s_add_u32 s57, 48, s57                                     // 000000007180: 803939B0
	v_mfma_f32_16x16x32_fp8_fp8 v[196:199], a[126:127], v[142:143], v[196:199]// 000000007184: D3F300C4 0F131D7E
	s_cmp_ge_u32 s57, s73                                      // 00000000718C: BF094939
	s_cselect_b32 s56, 0, s56                                  // 000000007190: 85383880
	v_add_u32_e32 v1, s56, v1                                  // 000000007194: 68020238
	s_addk_i32 s70, 0x100                                      // 000000007198: B7460100
	s_cmp_lt_i32 s70, s71                                      // 00000000719C: BF044746
	s_cbranch_scc0 label_13EA                                  // 0000000071A0: BF840001
	s_branch label_0F4D                                        // 0000000071A4: BF82FB63

00000000000071a8 <label_13EA>:
	s_nop 0                                                    // 0000000071A8: BF800000
	s_nop 0                                                    // 0000000071AC: BF800000
	s_branch label_188A                                        // 0000000071B0: BF82049D

00000000000071b4 <label_13ED>:
	s_waitcnt vmcnt(8) lgkmcnt(0)                              // 0000000071B4: BF8C0078
	v_mul_u32_u24_dpp v41, v20, v68 row_newbcast:0 row_mask:0xf bank_mask:0xf// 0000000071B8: 105288FA FF015014
	v_mul_u32_u24_dpp v42, v20, v68 row_newbcast:4 row_mask:0xf bank_mask:0xf// 0000000071C0: 105488FA FF015414
	v_mul_u32_u24_dpp v43, v20, v68 row_newbcast:8 row_mask:0xf bank_mask:0xf// 0000000071C8: 105688FA FF015814
	v_mul_u32_u24_dpp v44, v20, v68 row_newbcast:12 row_mask:0xf bank_mask:0xf// 0000000071D0: 105888FA FF015C14
	v_add_u32_e32 v29, v41, v6                                 // 0000000071D8: 683A0D29
	v_add_u32_e32 v30, v42, v6                                 // 0000000071DC: 683C0D2A
	v_add_u32_e32 v31, v43, v6                                 // 0000000071E0: 683E0D2B
	v_add_u32_e32 v32, v44, v6                                 // 0000000071E4: 68400D2C
	v_mul_u32_u24_dpp v41, v20, v78 quad_perm:[0,0,0,0] row_mask:0xf bank_mask:0xf// 0000000071E8: 10529CFA FF000014
	v_add_u32_e32 v3, v41, v74                                 // 0000000071F0: 68069529
	v_mul_u32_u24_dpp v41, v20, v78 quad_perm:[0,0,0,0] row_mask:0xf bank_mask:0xf// 0000000071F4: 10529CFA FF000014
	v_add_u32_e32 v71, v41, v75                                // 0000000071FC: 688E9729
	v_mfma_f32_16x16x32_fp8_fp8 v[128:131], a[0:1], v[96:97], 0// 000000007200: D3F30080 0A02C100
	buffer_load_dwordx4 a[32:35], v29, s[16:19], 0 offen       // 000000007208: E05C1000 8084201D
	v_mfma_f32_16x16x32_fp8_fp8 v[128:131], a[2:3], v[98:99], v[128:131]// 000000007210: D3F30080 0E02C502
	v_mfma_f32_16x16x32_fp8_fp8 v[128:131], a[4:5], v[100:101], v[128:131]// 000000007218: D3F30080 0E02C904
	buffer_load_dword v19, v1, s[24:27], 0 offen               // 000000007220: E0501000 80061301
	v_mfma_f32_16x16x32_fp8_fp8 v[128:131], a[6:7], v[102:103], v[128:131]// 000000007228: D3F30080 0E02CD06
	v_mfma_f32_16x16x32_fp8_fp8 v[132:135], a[8:9], v[96:97], 0// 000000007230: D3F30084 0A02C108
	buffer_load_dwordx4 a[36:39], v29, s[16:19], 0 offen offset:1024// 000000007238: E05C1400 8084241D
	v_mfma_f32_16x16x32_fp8_fp8 v[132:135], a[10:11], v[98:99], v[132:135]// 000000007240: D3F30084 0E12C50A
	v_mfma_f32_16x16x32_fp8_fp8 v[132:135], a[12:13], v[100:101], v[132:135]// 000000007248: D3F30084 0E12C90C
	v_mfma_f32_16x16x32_fp8_fp8 v[132:135], a[14:15], v[102:103], v[132:135]// 000000007250: D3F30084 0E12CD0E
	v_mfma_f32_16x16x32_fp8_fp8 v[136:139], a[16:17], v[96:97], 0// 000000007258: D3F30088 0A02C110
	buffer_load_dwordx4 a[40:43], v30, s[16:19], 0 offen       // 000000007260: E05C1000 8084281E
	v_mfma_f32_16x16x32_fp8_fp8 v[136:139], a[18:19], v[98:99], v[136:139]// 000000007268: D3F30088 0E22C512
	v_mfma_f32_16x16x32_fp8_fp8 v[136:139], a[20:21], v[100:101], v[136:139]// 000000007270: D3F30088 0E22C914
	v_mfma_f32_16x16x32_fp8_fp8 v[136:139], a[22:23], v[102:103], v[136:139]// 000000007278: D3F30088 0E22CD16
	v_mfma_f32_16x16x32_fp8_fp8 v[140:143], a[24:25], v[96:97], 0// 000000007280: D3F3008C 0A02C118
	buffer_load_dwordx4 a[44:47], v30, s[16:19], 0 offen offset:1024// 000000007288: E05C1400 80842C1E
	v_mfma_f32_16x16x32_fp8_fp8 v[140:143], a[26:27], v[98:99], v[140:143]// 000000007290: D3F3008C 0E32C51A
	v_mfma_f32_16x16x32_fp8_fp8 v[140:143], a[28:29], v[100:101], v[140:143]// 000000007298: D3F3008C 0E32C91C
	v_mfma_f32_16x16x32_fp8_fp8 v[140:143], a[30:31], v[102:103], v[140:143]// 0000000072A0: D3F3008C 0E32CD1E
	buffer_load_dword v53, v3, s[32:35], 0 offen               // 0000000072A8: E0501000 80083503
	v_mov_b32_dpp v41, v52 row_shr:4 row_mask:0xf bank_mask:0xf// 0000000072B0: 7E5202FA FF011434
	v_mov_b32_dpp v42, v52 row_shl:4 row_mask:0xf bank_mask:0xf// 0000000072B8: 7E5402FA FF010434
	v_cndmask_b32_e64 v248, v52, v41, s[44:45]                 // 0000000072C0: D10000F8 00B25334
	v_cndmask_b32_e64 v249, v42, v52, s[44:45]                 // 0000000072C8: D10000F9 00B2692A
	v_mov_b32_dpp v41, v248 row_shr:8 row_mask:0xf bank_mask:0xf// 0000000072D0: 7E5202FA FF0118F8
	v_mov_b32_dpp v42, v248 row_shl:8 row_mask:0xf bank_mask:0xf// 0000000072D8: 7E5402FA FF0108F8
	v_mov_b32_dpp v43, v249 row_shr:8 row_mask:0xf bank_mask:0xf// 0000000072E0: 7E5602FA FF0118F9
	v_mov_b32_dpp v44, v249 row_shl:8 row_mask:0xf bank_mask:0xf// 0000000072E8: 7E5802FA FF0108F9
	v_mov_b32_e32 v45, v248                                    // 0000000072F0: 7E5A03F8
	v_mov_b32_e32 v46, v249                                    // 0000000072F4: 7E5C03F9
	v_cndmask_b32_e64 v248, v45, v41, s[42:43]                 // 0000000072F8: D10000F8 00AA532D
	v_cndmask_b32_e64 v250, v45, v42, s[78:79]                 // 000000007300: D10000FA 013A552D
	v_cndmask_b32_e64 v249, v46, v43, s[42:43]                 // 000000007308: D10000F9 00AA572E
	v_cndmask_b32_e64 v251, v46, v44, s[78:79]                 // 000000007310: D10000FB 013A592E
	v_mov_b32_dpp v41, v72 row_shr:4 row_mask:0xf bank_mask:0xf// 000000007318: 7E5202FA FF011448
	v_mov_b32_dpp v42, v72 row_shl:4 row_mask:0xf bank_mask:0xf// 000000007320: 7E5402FA FF010448
	v_cndmask_b32_e64 v252, v72, v41, s[44:45]                 // 000000007328: D10000FC 00B25348
	v_cndmask_b32_e64 v253, v42, v72, s[44:45]                 // 000000007330: D10000FD 00B2912A
	v_mov_b32_dpp v41, v252 row_shr:8 row_mask:0xf bank_mask:0xf// 000000007338: 7E5202FA FF0118FC
	v_mov_b32_dpp v42, v252 row_shl:8 row_mask:0xf bank_mask:0xf// 000000007340: 7E5402FA FF0108FC
	v_mov_b32_dpp v43, v253 row_shr:8 row_mask:0xf bank_mask:0xf// 000000007348: 7E5602FA FF0118FD
	v_mov_b32_dpp v44, v253 row_shl:8 row_mask:0xf bank_mask:0xf// 000000007350: 7E5802FA FF0108FD
	v_mov_b32_e32 v45, v252                                    // 000000007358: 7E5A03FC
	v_mov_b32_e32 v46, v253                                    // 00000000735C: 7E5C03FD
	v_cndmask_b32_e64 v252, v45, v41, s[42:43]                 // 000000007360: D10000FC 00AA532D
	v_cndmask_b32_e64 v254, v45, v42, s[78:79]                 // 000000007368: D10000FE 013A552D
	v_cndmask_b32_e64 v253, v46, v43, s[42:43]                 // 000000007370: D10000FD 00AA572E
	v_cndmask_b32_e64 v255, v46, v44, s[78:79]                 // 000000007378: D10000FF 013A592E
	buffer_load_dword v73, v71, s[36:39], 0 offen              // 000000007380: E0501000 80094947
	v_mul_f32_e32 v128, v54, v128                              // 000000007388: 0B010136
	v_mul_f32_e32 v129, v54, v129                              // 00000000738C: 0B030336
	v_mul_f32_e32 v130, v54, v130                              // 000000007390: 0B050536
	v_mul_f32_e32 v131, v54, v131                              // 000000007394: 0B070736
	v_mul_f32_e32 v132, v54, v132                              // 000000007398: 0B090936
	v_mul_f32_e32 v133, v54, v133                              // 00000000739C: 0B0B0B36
	v_mul_f32_e32 v134, v54, v134                              // 0000000073A0: 0B0D0D36
	v_mul_f32_e32 v135, v54, v135                              // 0000000073A4: 0B0F0F36
	v_mul_f32_e32 v136, v54, v136                              // 0000000073A8: 0B111136
	v_mul_f32_e32 v137, v54, v137                              // 0000000073AC: 0B131336
	v_mul_f32_e32 v138, v54, v138                              // 0000000073B0: 0B151536
	v_mul_f32_e32 v139, v54, v139                              // 0000000073B4: 0B171736
	v_mul_f32_e32 v140, v54, v140                              // 0000000073B8: 0B191936
	v_mul_f32_e32 v141, v54, v141                              // 0000000073BC: 0B1B1B36
	v_mul_f32_e32 v142, v54, v142                              // 0000000073C0: 0B1D1D36
	v_mul_f32_e32 v143, v54, v143                              // 0000000073C4: 0B1F1F36
	buffer_load_dwordx4 a[48:51], v31, s[16:19], 0 offen       // 0000000073C8: E05C1000 8084301F
	v_mul_f32_dpp v128, v248, v128 quad_perm:[0,0,0,0] row_mask:0xf bank_mask:0xf// 0000000073D0: 0B0100FA FF0000F8
	v_mul_f32_dpp v129, v248, v129 quad_perm:[1,1,1,1] row_mask:0xf bank_mask:0xf// 0000000073D8: 0B0302FA FF0055F8
	v_mul_f32_dpp v130, v248, v130 quad_perm:[2,2,2,2] row_mask:0xf bank_mask:0xf// 0000000073E0: 0B0504FA FF00AAF8
	v_mul_f32_dpp v131, v248, v131 quad_perm:[3,3,3,3] row_mask:0xf bank_mask:0xf// 0000000073E8: 0B0706FA FF00FFF8
	v_mul_f32_dpp v132, v249, v132 quad_perm:[0,0,0,0] row_mask:0xf bank_mask:0xf// 0000000073F0: 0B0908FA FF0000F9
	v_mul_f32_dpp v133, v249, v133 quad_perm:[1,1,1,1] row_mask:0xf bank_mask:0xf// 0000000073F8: 0B0B0AFA FF0055F9
	v_mul_f32_dpp v134, v249, v134 quad_perm:[2,2,2,2] row_mask:0xf bank_mask:0xf// 000000007400: 0B0D0CFA FF00AAF9
	v_mul_f32_dpp v135, v249, v135 quad_perm:[3,3,3,3] row_mask:0xf bank_mask:0xf// 000000007408: 0B0F0EFA FF00FFF9
	v_mul_f32_dpp v136, v250, v136 quad_perm:[0,0,0,0] row_mask:0xf bank_mask:0xf// 000000007410: 0B1110FA FF0000FA
	v_mul_f32_dpp v137, v250, v137 quad_perm:[1,1,1,1] row_mask:0xf bank_mask:0xf// 000000007418: 0B1312FA FF0055FA
	v_mul_f32_dpp v138, v250, v138 quad_perm:[2,2,2,2] row_mask:0xf bank_mask:0xf// 000000007420: 0B1514FA FF00AAFA
	v_mul_f32_dpp v139, v250, v139 quad_perm:[3,3,3,3] row_mask:0xf bank_mask:0xf// 000000007428: 0B1716FA FF00FFFA
	v_mul_f32_dpp v140, v251, v140 quad_perm:[0,0,0,0] row_mask:0xf bank_mask:0xf// 000000007430: 0B1918FA FF0000FB
	v_mul_f32_dpp v141, v251, v141 quad_perm:[1,1,1,1] row_mask:0xf bank_mask:0xf// 000000007438: 0B1B1AFA FF0055FB
	v_mul_f32_dpp v142, v251, v142 quad_perm:[2,2,2,2] row_mask:0xf bank_mask:0xf// 000000007440: 0B1D1CFA FF00AAFB
	v_mul_f32_dpp v143, v251, v143 quad_perm:[3,3,3,3] row_mask:0xf bank_mask:0xf// 000000007448: 0B1F1EFA FF00FFFB
	buffer_load_dwordx4 a[52:55], v31, s[16:19], 0 offen offset:1024// 000000007450: E05C1400 8084341F
	v_mov_b32_e32 v62, v128                                    // 000000007458: 7E7C0380
	v_max3_f32 v62, v128, v129, v62                            // 00000000745C: D1D3003E 04FB0380
	v_max3_f32 v62, v130, v131, v62                            // 000000007464: D1D3003E 04FB0782
	v_max3_f32 v62, v132, v133, v62                            // 00000000746C: D1D3003E 04FB0B84
	v_max3_f32 v62, v134, v135, v62                            // 000000007474: D1D3003E 04FB0F86
	v_max3_f32 v62, v136, v137, v62                            // 00000000747C: D1D3003E 04FB1388
	v_max3_f32 v62, v138, v139, v62                            // 000000007484: D1D3003E 04FB178A
	v_max3_f32 v62, v140, v141, v62                            // 00000000748C: D1D3003E 04FB1B8C
	v_max3_f32 v62, v142, v143, v62                            // 000000007494: D1D3003E 04FB1F8E
	ds_write_b32 v11, v62 offset:16896                         // 00000000749C: D81A4200 00003E0B
	buffer_load_dwordx4 a[56:59], v32, s[16:19], 0 offen       // 0000000074A4: E05C1000 80843820
	v_mul_u32_u24_dpp v41, v20, v68 row_newbcast:1 row_mask:0xf bank_mask:0xf// 0000000074AC: 105288FA FF015114
	v_mul_u32_u24_dpp v42, v20, v68 row_newbcast:5 row_mask:0xf bank_mask:0xf// 0000000074B4: 105488FA FF015514
	v_mul_u32_u24_dpp v43, v20, v68 row_newbcast:9 row_mask:0xf bank_mask:0xf// 0000000074BC: 105688FA FF015914
	v_mul_u32_u24_dpp v44, v20, v68 row_newbcast:13 row_mask:0xf bank_mask:0xf// 0000000074C4: 105888FA FF015D14
	v_add_u32_e32 v37, v41, v7                                 // 0000000074CC: 684A0F29
	v_add_u32_e32 v38, v42, v7                                 // 0000000074D0: 684C0F2A
	v_add_u32_e32 v39, v43, v7                                 // 0000000074D4: 684E0F2B
	v_add_u32_e32 v40, v44, v7                                 // 0000000074D8: 68500F2C
	v_mul_f32_e32 v224, v63, v224                              // 0000000074DC: 0BC1C13F
	v_mul_f32_e32 v225, v63, v225                              // 0000000074E0: 0BC3C33F
	v_mul_f32_e32 v226, v63, v226                              // 0000000074E4: 0BC5C53F
	v_mul_f32_e32 v227, v63, v227                              // 0000000074E8: 0BC7C73F
	v_mul_f32_e32 v228, v63, v228                              // 0000000074EC: 0BC9C93F
	v_mul_f32_e32 v229, v63, v229                              // 0000000074F0: 0BCBCB3F
	v_mul_f32_e32 v230, v63, v230                              // 0000000074F4: 0BCDCD3F
	v_mul_f32_e32 v231, v63, v231                              // 0000000074F8: 0BCFCF3F
	s_waitcnt lgkmcnt(0)                                       // 0000000074FC: BF8CC07F
	s_barrier                                                  // 000000007500: BF8A0000
	ds_read_b32 v80, v10 offset:16896                          // 000000007504: D86C4200 5000000A
	ds_read_b32 v81, v10 offset:16960                          // 00000000750C: D86C4240 5100000A
	ds_read_b32 v82, v10 offset:17024                          // 000000007514: D86C4280 5200000A
	ds_read_b32 v83, v10 offset:17088                          // 00000000751C: D86C42C0 5300000A
	ds_read_b32 v84, v10 offset:17152                          // 000000007524: D86C4300 5400000A
	ds_read_b32 v85, v10 offset:17216                          // 00000000752C: D86C4340 5500000A
	ds_read_b32 v86, v10 offset:17280                          // 000000007534: D86C4380 5600000A
	ds_read_b32 v87, v10 offset:17344                          // 00000000753C: D86C43C0 5700000A
	ds_read_b32 v88, v10 offset:17408                          // 000000007544: D86C4400 5800000A
	ds_read_b32 v89, v10 offset:17472                          // 00000000754C: D86C4440 5900000A
	ds_read_b32 v90, v10 offset:17536                          // 000000007554: D86C4480 5A00000A
	ds_read_b32 v91, v10 offset:17600                          // 00000000755C: D86C44C0 5B00000A
	ds_read_b32 v92, v10 offset:17664                          // 000000007564: D86C4500 5C00000A
	ds_read_b32 v93, v10 offset:17728                          // 00000000756C: D86C4540 5D00000A
	ds_read_b32 v94, v10 offset:17792                          // 000000007574: D86C4580 5E00000A
	ds_read_b32 v95, v10 offset:17856                          // 00000000757C: D86C45C0 5F00000A
	buffer_load_dwordx4 a[60:63], v32, s[16:19], 0 offen offset:1024// 000000007584: E05C1400 80843C20
	v_mul_f32_e32 v192, v58, v192                              // 00000000758C: 0B81813A
	v_mul_f32_e32 v193, v58, v193                              // 000000007590: 0B83833A
	v_mul_f32_e32 v194, v58, v194                              // 000000007594: 0B85853A
	v_mul_f32_e32 v195, v58, v195                              // 000000007598: 0B87873A
	v_mul_f32_e32 v196, v58, v196                              // 00000000759C: 0B89893A
	v_mul_f32_e32 v197, v58, v197                              // 0000000075A0: 0B8B8B3A
	v_mul_f32_e32 v198, v58, v198                              // 0000000075A4: 0B8D8D3A
	v_mul_f32_e32 v199, v58, v199                              // 0000000075A8: 0B8F8F3A
	s_waitcnt lgkmcnt(0)                                       // 0000000075AC: BF8CC07F
	v_max3_f32 v62, v80, v81, v62                              // 0000000075B0: D1D3003E 04FAA350
	v_max3_f32 v62, v82, v83, v62                              // 0000000075B8: D1D3003E 04FAA752
	v_max3_f32 v62, v84, v85, v62                              // 0000000075C0: D1D3003E 04FAAB54
	v_max3_f32 v62, v86, v87, v62                              // 0000000075C8: D1D3003E 04FAAF56
	v_max3_f32 v62, v88, v89, v62                              // 0000000075D0: D1D3003E 04FAB358
	v_max3_f32 v62, v90, v91, v62                              // 0000000075D8: D1D3003E 04FAB75A
	v_max3_f32 v62, v92, v93, v62                              // 0000000075E0: D1D3003E 04FABB5C
	v_max3_f32 v62, v94, v95, v62                              // 0000000075E8: D1D3003E 04FABF5E
	buffer_load_dwordx4 a[96:99], v37, s[20:23], 0 offen       // 0000000075F0: E05C1000 80856025
	v_mov_b32_e32 v41, 0xff800000                              // 0000000075F8: 7E5202FF FF800000
	v_cmp_eq_u32_e64 s[40:41], v41, v14                        // 000000007600: D0CA0028 00021D29
	s_nop 1                                                    // 000000007608: BF800001
	v_max_f32_e32 v18, v62, v14                                // 00000000760C: 16241D3E
	v_mul_f32_e32 v67, s64, v18                                // 000000007610: 0A862440
	v_fma_f32 v128, v128, s64, -v67                            // 000000007614: D1CB0080 850C8180
	v_fma_f32 v129, v129, s64, -v67                            // 00000000761C: D1CB0081 850C8181
	v_fma_f32 v130, v130, s64, -v67                            // 000000007624: D1CB0082 850C8182
	v_fma_f32 v131, v131, s64, -v67                            // 00000000762C: D1CB0083 850C8183
	v_fma_f32 v132, v132, s64, -v67                            // 000000007634: D1CB0084 850C8184
	v_fma_f32 v133, v133, s64, -v67                            // 00000000763C: D1CB0085 850C8185
	v_fma_f32 v134, v134, s64, -v67                            // 000000007644: D1CB0086 850C8186
	v_fma_f32 v135, v135, s64, -v67                            // 00000000764C: D1CB0087 850C8187
	v_fma_f32 v136, v136, s64, -v67                            // 000000007654: D1CB0088 850C8188
	v_fma_f32 v137, v137, s64, -v67                            // 00000000765C: D1CB0089 850C8189
	v_fma_f32 v138, v138, s64, -v67                            // 000000007664: D1CB008A 850C818A
	v_fma_f32 v139, v139, s64, -v67                            // 00000000766C: D1CB008B 850C818B
	v_fma_f32 v140, v140, s64, -v67                            // 000000007674: D1CB008C 850C818C
	v_fma_f32 v141, v141, s64, -v67                            // 00000000767C: D1CB008D 850C818D
	v_fma_f32 v142, v142, s64, -v67                            // 000000007684: D1CB008E 850C818E
	v_fma_f32 v143, v143, s64, -v67                            // 00000000768C: D1CB008F 850C818F
	buffer_load_dwordx4 a[100:103], v38, s[20:23], 0 offen     // 000000007694: E05C1000 80856426
	v_exp_f32_e32 v128, v128                                   // 00000000769C: 7F004180
	v_exp_f32_e32 v129, v129                                   // 0000000076A0: 7F024181
	v_exp_f32_e32 v130, v130                                   // 0000000076A4: 7F044182
	v_exp_f32_e32 v131, v131                                   // 0000000076A8: 7F064183
	v_exp_f32_e32 v132, v132                                   // 0000000076AC: 7F084184
	v_exp_f32_e32 v133, v133                                   // 0000000076B0: 7F0A4185
	v_exp_f32_e32 v134, v134                                   // 0000000076B4: 7F0C4186
	v_exp_f32_e32 v135, v135                                   // 0000000076B8: 7F0E4187
	v_exp_f32_e32 v136, v136                                   // 0000000076BC: 7F104188
	v_exp_f32_e32 v137, v137                                   // 0000000076C0: 7F124189
	v_exp_f32_e32 v138, v138                                   // 0000000076C4: 7F14418A
	v_exp_f32_e32 v139, v139                                   // 0000000076C8: 7F16418B
	v_exp_f32_e32 v140, v140                                   // 0000000076CC: 7F18418C
	v_exp_f32_e32 v141, v141                                   // 0000000076D0: 7F1A418D
	v_exp_f32_e32 v142, v142                                   // 0000000076D4: 7F1C418E
	v_exp_f32_e32 v143, v143                                   // 0000000076D8: 7F1E418F
	buffer_load_dwordx4 a[104:107], v39, s[20:23], 0 offen     // 0000000076DC: E05C1000 80856827
	v_mul_f32_dpp v240, v252, v128 quad_perm:[0,0,0,0] row_mask:0xf bank_mask:0xf// 0000000076E4: 0BE100FA FF0000FC
	v_mul_f32_dpp v241, v252, v129 quad_perm:[1,1,1,1] row_mask:0xf bank_mask:0xf// 0000000076EC: 0BE302FA FF0055FC
	v_mul_f32_dpp v242, v252, v130 quad_perm:[2,2,2,2] row_mask:0xf bank_mask:0xf// 0000000076F4: 0BE504FA FF00AAFC
	v_mul_f32_dpp v243, v252, v131 quad_perm:[3,3,3,3] row_mask:0xf bank_mask:0xf// 0000000076FC: 0BE706FA FF00FFFC
	v_mul_f32_dpp v244, v253, v132 quad_perm:[0,0,0,0] row_mask:0xf bank_mask:0xf// 000000007704: 0BE908FA FF0000FD
	v_mul_f32_dpp v245, v253, v133 quad_perm:[1,1,1,1] row_mask:0xf bank_mask:0xf// 00000000770C: 0BEB0AFA FF0055FD
	v_mul_f32_dpp v246, v253, v134 quad_perm:[2,2,2,2] row_mask:0xf bank_mask:0xf// 000000007714: 0BED0CFA FF00AAFD
	v_mul_f32_dpp v247, v253, v135 quad_perm:[3,3,3,3] row_mask:0xf bank_mask:0xf// 00000000771C: 0BEF0EFA FF00FFFD
	v_mul_f32_dpp v248, v254, v136 quad_perm:[0,0,0,0] row_mask:0xf bank_mask:0xf// 000000007724: 0BF110FA FF0000FE
	v_mul_f32_dpp v249, v254, v137 quad_perm:[1,1,1,1] row_mask:0xf bank_mask:0xf// 00000000772C: 0BF312FA FF0055FE
	v_mul_f32_dpp v250, v254, v138 quad_perm:[2,2,2,2] row_mask:0xf bank_mask:0xf// 000000007734: 0BF514FA FF00AAFE
	v_mul_f32_dpp v251, v254, v139 quad_perm:[3,3,3,3] row_mask:0xf bank_mask:0xf// 00000000773C: 0BF716FA FF00FFFE
	v_mul_f32_dpp v252, v255, v140 quad_perm:[0,0,0,0] row_mask:0xf bank_mask:0xf// 000000007744: 0BF918FA FF0000FF
	v_mul_f32_dpp v253, v255, v141 quad_perm:[1,1,1,1] row_mask:0xf bank_mask:0xf// 00000000774C: 0BFB1AFA FF0055FF
	v_mul_f32_dpp v254, v255, v142 quad_perm:[2,2,2,2] row_mask:0xf bank_mask:0xf// 000000007754: 0BFD1CFA FF00AAFF
	v_mul_f32_dpp v255, v255, v143 quad_perm:[3,3,3,3] row_mask:0xf bank_mask:0xf// 00000000775C: 0BFF1EFA FF00FFFF
	v_mov_b32_e32 v62, 0x358637bd                              // 000000007764: 7E7C02FF 358637BD
	v_max3_f32 v62, |v240|, |v241|, v62                        // 00000000776C: D1D3033E 04FBE3F0
	v_max3_f32 v62, |v242|, |v243|, v62                        // 000000007774: D1D3033E 04FBE7F2
	v_max3_f32 v62, |v244|, |v245|, v62                        // 00000000777C: D1D3033E 04FBEBF4
	v_max3_f32 v62, |v246|, |v247|, v62                        // 000000007784: D1D3033E 04FBEFF6
	v_max3_f32 v62, |v248|, |v249|, v62                        // 00000000778C: D1D3033E 04FBF3F8
	v_max3_f32 v62, |v250|, |v251|, v62                        // 000000007794: D1D3033E 04FBF7FA
	v_max3_f32 v62, |v252|, |v253|, v62                        // 00000000779C: D1D3033E 04FBFBFC
	v_max3_f32 v62, |v254|, |v255|, v62                        // 0000000077A4: D1D3033E 04FBFFFE
	buffer_load_dwordx4 a[108:111], v40, s[20:23], 0 offen     // 0000000077AC: E05C1000 80856C28
	ds_write_b32 v11, v62 offset:20992                         // 0000000077B4: D81A5200 00003E0B
	v_sub_f32_e32 v63, v14, v18                                // 0000000077BC: 047E250E
	v_cndmask_b32_e64 v63, v63, 0, s[40:41]                    // 0000000077C0: D100003F 00A1013F
	v_mov_b32_e32 v14, v18                                     // 0000000077C8: 7E1C0312
	v_mul_f32_e32 v63, s64, v63                                // 0000000077CC: 0A7E7E40
	v_exp_f32_e32 v63, v63                                     // 0000000077D0: 7E7E413F
	s_waitcnt lgkmcnt(0)                                       // 0000000077D4: BF8CC07F
	s_barrier                                                  // 0000000077D8: BF8A0000
	ds_read_b32 v80, v10 offset:20992                          // 0000000077DC: D86C5200 5000000A
	ds_read_b32 v81, v10 offset:21056                          // 0000000077E4: D86C5240 5100000A
	ds_read_b32 v82, v10 offset:21120                          // 0000000077EC: D86C5280 5200000A
	ds_read_b32 v83, v10 offset:21184                          // 0000000077F4: D86C52C0 5300000A
	ds_read_b32 v84, v10 offset:21248                          // 0000000077FC: D86C5300 5400000A
	ds_read_b32 v85, v10 offset:21312                          // 000000007804: D86C5340 5500000A
	ds_read_b32 v86, v10 offset:21376                          // 00000000780C: D86C5380 5600000A
	ds_read_b32 v87, v10 offset:21440                          // 000000007814: D86C53C0 5700000A
	ds_read_b32 v88, v10 offset:21504                          // 00000000781C: D86C5400 5800000A
	ds_read_b32 v89, v10 offset:21568                          // 000000007824: D86C5440 5900000A
	ds_read_b32 v90, v10 offset:21632                          // 00000000782C: D86C5480 5A00000A
	ds_read_b32 v91, v10 offset:21696                          // 000000007834: D86C54C0 5B00000A
	ds_read_b32 v92, v10 offset:21760                          // 00000000783C: D86C5500 5C00000A
	ds_read_b32 v93, v10 offset:21824                          // 000000007844: D86C5540 5D00000A
	ds_read_b32 v94, v10 offset:21888                          // 00000000784C: D86C5580 5E00000A
	ds_read_b32 v95, v10 offset:21952                          // 000000007854: D86C55C0 5F00000A
	v_mul_f32_e32 v47, v63, v47                                // 00000000785C: 0A5E5F3F
	v_mov_b32_e32 v18, v128                                    // 000000007860: 7E240380
	v_add_f32_e32 v18, v129, v18                               // 000000007864: 02242581
	v_add_f32_e32 v18, v130, v18                               // 000000007868: 02242582
	v_add_f32_e32 v18, v131, v18                               // 00000000786C: 02242583
	v_add_f32_e32 v18, v132, v18                               // 000000007870: 02242584
	v_add_f32_e32 v18, v133, v18                               // 000000007874: 02242585
	;; [unrolled: 1-line block ×3, first 2 shown]
	v_add_f32_e32 v18, v135, v18                               // 00000000787C: 02242587
	v_add_f32_e32 v18, v136, v18                               // 000000007880: 02242588
	v_add_f32_e32 v18, v137, v18                               // 000000007884: 02242589
	v_add_f32_e32 v18, v138, v18                               // 000000007888: 0224258A
	v_add_f32_e32 v18, v139, v18                               // 00000000788C: 0224258B
	v_add_f32_e32 v18, v140, v18                               // 000000007890: 0224258C
	v_add_f32_e32 v18, v141, v18                               // 000000007894: 0224258D
	v_add_f32_e32 v18, v142, v18                               // 000000007898: 0224258E
	v_add_f32_e32 v18, v143, v18                               // 00000000789C: 0224258F
	v_add_f32_e32 v47, v18, v47                                // 0000000078A0: 025E5F12
	s_waitcnt lgkmcnt(0)                                       // 0000000078A4: BF8CC07F
	v_max3_f32 v62, |v80|, |v81|, v62                          // 0000000078A8: D1D3033E 04FAA350
	v_max3_f32 v62, |v82|, |v83|, v62                          // 0000000078B0: D1D3033E 04FAA752
	v_max3_f32 v62, |v84|, |v85|, v62                          // 0000000078B8: D1D3033E 04FAAB54
	v_max3_f32 v62, |v86|, |v87|, v62                          // 0000000078C0: D1D3033E 04FAAF56
	v_max3_f32 v62, |v88|, |v89|, v62                          // 0000000078C8: D1D3033E 04FAB358
	v_max3_f32 v62, |v90|, |v91|, v62                          // 0000000078D0: D1D3033E 04FAB75A
	v_max3_f32 v62, |v92|, |v93|, v62                          // 0000000078D8: D1D3033E 04FABB5C
	v_max3_f32 v62, |v94|, |v95|, v62                          // 0000000078E0: D1D3033E 04FABF5E
	s_nop 2                                                    // 0000000078E8: BF800002
	v_rcp_f32_e32 v62, v62                                     // 0000000078EC: 7E7C453E
	s_nop 1                                                    // 0000000078F0: BF800001
	v_mul_f32_e32 v62, 0x43700000, v62                         // 0000000078F4: 0A7C7CFF 43700000
	v_mul_f32_e32 v128, v62, v240                              // 0000000078FC: 0B01E13E
	v_mul_f32_e32 v129, v62, v241                              // 000000007900: 0B03E33E
	v_mul_f32_e32 v130, v62, v242                              // 000000007904: 0B05E53E
	v_mul_f32_e32 v131, v62, v243                              // 000000007908: 0B07E73E
	v_mul_f32_e32 v132, v62, v244                              // 00000000790C: 0B09E93E
	v_mul_f32_e32 v133, v62, v245                              // 000000007910: 0B0BEB3E
	v_mul_f32_e32 v134, v62, v246                              // 000000007914: 0B0DED3E
	v_mul_f32_e32 v135, v62, v247                              // 000000007918: 0B0FEF3E
	v_mul_f32_e32 v136, v62, v248                              // 00000000791C: 0B11F13E
	v_mul_f32_e32 v137, v62, v249                              // 000000007920: 0B13F33E
	v_mul_f32_e32 v138, v62, v250                              // 000000007924: 0B15F53E
	v_mul_f32_e32 v139, v62, v251                              // 000000007928: 0B17F73E
	v_mul_f32_e32 v140, v62, v252                              // 00000000792C: 0B19F93E
	v_mul_f32_e32 v141, v62, v253                              // 000000007930: 0B1BFB3E
	v_mul_f32_e32 v142, v62, v254                              // 000000007934: 0B1DFD3E
	v_mul_f32_e32 v143, v62, v255                              // 000000007938: 0B1FFF3E
	v_cvt_pk_fp8_f32 v128, v128, v129                          // 00000000793C: D2A20080 00030380
	v_cvt_pk_fp8_f32 v128, v130, v131 op_sel:[0,0,1]           // 000000007944: D2A24080 00030782
	v_cvt_pk_fp8_f32 v129, v132, v133                          // 00000000794C: D2A20081 00030B84
	v_cvt_pk_fp8_f32 v129, v134, v135 op_sel:[0,0,1]           // 000000007954: D2A24081 00030F86
	v_cvt_pk_fp8_f32 v130, v136, v137                          // 00000000795C: D2A20082 00031388
	v_cvt_pk_fp8_f32 v130, v138, v139 op_sel:[0,0,1]           // 000000007964: D2A24082 0003178A
	v_cvt_pk_fp8_f32 v131, v140, v141                          // 00000000796C: D2A20083 00031B8C
	v_cvt_pk_fp8_f32 v131, v142, v143 op_sel:[0,0,1]           // 000000007974: D2A24083 00031F8E
	ds_write_b32 v13, v128 offset:25088                        // 00000000797C: D81A6200 0000800D
	ds_write_b32 v13, v129 offset:26112                        // 000000007984: D81A6600 0000810D
	ds_write_b32 v13, v130 offset:27136                        // 00000000798C: D81A6A00 0000820D
	ds_write_b32 v13, v131 offset:28160                        // 000000007994: D81A6E00 0000830D
	v_add_f32_e32 v224, v224, v192                             // 00000000799C: 03C181E0
	v_add_f32_e32 v225, v225, v193                             // 0000000079A0: 03C383E1
	v_add_f32_e32 v226, v226, v194                             // 0000000079A4: 03C585E2
	v_add_f32_e32 v227, v227, v195                             // 0000000079A8: 03C787E3
	v_add_f32_e32 v228, v228, v196                             // 0000000079AC: 03C989E4
	v_add_f32_e32 v229, v229, v197                             // 0000000079B0: 03CB8BE5
	v_add_f32_e32 v230, v230, v198                             // 0000000079B4: 03CD8DE6
	v_add_f32_e32 v231, v231, v199                             // 0000000079B8: 03CF8FE7
	v_rcp_f32_e32 v58, v62                                     // 0000000079BC: 7E74453E
	s_waitcnt lgkmcnt(0)                                       // 0000000079C0: BF8CC07F
	s_barrier                                                  // 0000000079C4: BF8A0000
	ds_read_b64 v[128:129], v12 offset:25088                   // 0000000079C8: D8EC6200 8000000C
	ds_read_b64 v[130:131], v12 offset:25216                   // 0000000079D0: D8EC6280 8200000C
	ds_read_b64 v[132:133], v12 offset:26112                   // 0000000079D8: D8EC6600 8400000C
	ds_read_b64 v[134:135], v12 offset:26240                   // 0000000079E0: D8EC6680 8600000C
	ds_read_b64 v[136:137], v12 offset:27136                   // 0000000079E8: D8EC6A00 8800000C
	ds_read_b64 v[138:139], v12 offset:27264                   // 0000000079F0: D8EC6A80 8A00000C
	ds_read_b64 v[140:141], v12 offset:28160                   // 0000000079F8: D8EC6E00 8C00000C
	ds_read_b64 v[142:143], v12 offset:28288                   // 000000007A00: D8EC6E80 8E00000C
	s_waitcnt vmcnt(15)                                        // 000000007A08: BF8C0F7F
	s_waitcnt lgkmcnt(7)                                       // 000000007A0C: BF8CC77F
	v_mfma_f32_16x16x32_fp8_fp8 v[192:195], a[64:65], v[128:129], 0// 000000007A10: D3F300C0 0A030140
	buffer_load_dwordx4 a[112:115], v37, s[20:23], 0 offen offset:1024// 000000007A18: E05C1400 80857025
	s_waitcnt lgkmcnt(6)                                       // 000000007A20: BF8CC67F
	v_mfma_f32_16x16x32_fp8_fp8 v[192:195], a[66:67], v[130:131], v[192:195]// 000000007A24: D3F300C0 0F030542
	s_waitcnt lgkmcnt(5)                                       // 000000007A2C: BF8CC57F
	v_mfma_f32_16x16x32_fp8_fp8 v[192:195], a[68:69], v[132:133], v[192:195]// 000000007A30: D3F300C0 0F030944
	s_waitcnt lgkmcnt(4)                                       // 000000007A38: BF8CC47F
	v_mfma_f32_16x16x32_fp8_fp8 v[192:195], a[70:71], v[134:135], v[192:195]// 000000007A3C: D3F300C0 0F030D46
	s_waitcnt lgkmcnt(3)                                       // 000000007A44: BF8CC37F
	v_mfma_f32_16x16x32_fp8_fp8 v[192:195], a[72:73], v[136:137], v[192:195]// 000000007A48: D3F300C0 0F031148
	buffer_load_dwordx4 a[116:119], v38, s[20:23], 0 offen offset:1024// 000000007A50: E05C1400 80857426
	s_waitcnt lgkmcnt(2)                                       // 000000007A58: BF8CC27F
	v_mfma_f32_16x16x32_fp8_fp8 v[192:195], a[74:75], v[138:139], v[192:195]// 000000007A5C: D3F300C0 0F03154A
	s_waitcnt lgkmcnt(1)                                       // 000000007A64: BF8CC17F
	v_mfma_f32_16x16x32_fp8_fp8 v[192:195], a[76:77], v[140:141], v[192:195]// 000000007A68: D3F300C0 0F03194C
	s_waitcnt lgkmcnt(0)                                       // 000000007A70: BF8CC07F
	v_mfma_f32_16x16x32_fp8_fp8 v[192:195], a[78:79], v[142:143], v[192:195]// 000000007A74: D3F300C0 0F031D4E
	v_mfma_f32_16x16x32_fp8_fp8 v[196:199], a[80:81], v[128:129], 0// 000000007A7C: D3F300C4 0A030150
	buffer_load_dwordx4 a[120:123], v39, s[20:23], 0 offen offset:1024// 000000007A84: E05C1400 80857827
	v_mfma_f32_16x16x32_fp8_fp8 v[196:199], a[82:83], v[130:131], v[196:199]// 000000007A8C: D3F300C4 0F130552
	v_mfma_f32_16x16x32_fp8_fp8 v[196:199], a[84:85], v[132:133], v[196:199]// 000000007A94: D3F300C4 0F130954
	v_mfma_f32_16x16x32_fp8_fp8 v[196:199], a[86:87], v[134:135], v[196:199]// 000000007A9C: D3F300C4 0F130D56
	v_mfma_f32_16x16x32_fp8_fp8 v[196:199], a[88:89], v[136:137], v[196:199]// 000000007AA4: D3F300C4 0F131158
	buffer_load_dwordx4 a[124:127], v40, s[20:23], 0 offen offset:1024// 000000007AAC: E05C1400 80857C28
	v_mfma_f32_16x16x32_fp8_fp8 v[196:199], a[90:91], v[138:139], v[196:199]// 000000007AB4: D3F300C4 0F13155A
	v_mfma_f32_16x16x32_fp8_fp8 v[196:199], a[92:93], v[140:141], v[196:199]// 000000007ABC: D3F300C4 0F13195C
	s_lshr_b32 s57, s70, 4                                     // 000000007AC4: 8F398446
	s_add_u32 s57, 48, s57                                     // 000000007AC8: 803939B0
	v_mfma_f32_16x16x32_fp8_fp8 v[196:199], a[94:95], v[142:143], v[196:199]// 000000007ACC: D3F300C4 0F131D5E
	s_cmp_ge_u32 s57, s73                                      // 000000007AD4: BF094939
	s_cselect_b32 s56, 0, s56                                  // 000000007AD8: 85383880
	v_add_u32_e32 v1, s56, v1                                  // 000000007ADC: 68020238
	s_addk_i32 s70, 0x100                                      // 000000007AE0: B7460100
	s_cmp_lt_i32 s70, s71                                      // 000000007AE4: BF044746
	s_cbranch_scc0 label_13EA                                  // 000000007AE8: BF84FDAF
	s_waitcnt vmcnt(8) lgkmcnt(0)                              // 000000007AEC: BF8C0078
	v_mul_u32_u24_dpp v41, v19, v68 row_newbcast:0 row_mask:0xf bank_mask:0xf// 000000007AF0: 105288FA FF015013
	v_mul_u32_u24_dpp v42, v19, v68 row_newbcast:4 row_mask:0xf bank_mask:0xf// 000000007AF8: 105488FA FF015413
	v_mul_u32_u24_dpp v43, v19, v68 row_newbcast:8 row_mask:0xf bank_mask:0xf// 000000007B00: 105688FA FF015813
	v_mul_u32_u24_dpp v44, v19, v68 row_newbcast:12 row_mask:0xf bank_mask:0xf// 000000007B08: 105888FA FF015C13
	v_add_u32_e32 v25, v41, v6                                 // 000000007B10: 68320D29
	v_add_u32_e32 v26, v42, v6                                 // 000000007B14: 68340D2A
	v_add_u32_e32 v27, v43, v6                                 // 000000007B18: 68360D2B
	v_add_u32_e32 v28, v44, v6                                 // 000000007B1C: 68380D2C
	v_mul_u32_u24_dpp v41, v19, v78 quad_perm:[0,0,0,0] row_mask:0xf bank_mask:0xf// 000000007B20: 10529CFA FF000013
	v_add_u32_e32 v2, v41, v74                                 // 000000007B28: 68049529
	v_mul_u32_u24_dpp v41, v19, v78 quad_perm:[0,0,0,0] row_mask:0xf bank_mask:0xf// 000000007B2C: 10529CFA FF000013
	v_add_u32_e32 v70, v41, v75                                // 000000007B34: 688C9729
	v_mfma_f32_16x16x32_fp8_fp8 v[128:131], a[32:33], v[96:97], 0// 000000007B38: D3F30080 0A02C120
	buffer_load_dwordx4 a[0:3], v25, s[16:19], 0 offen         // 000000007B40: E05C1000 80840019
	v_mfma_f32_16x16x32_fp8_fp8 v[128:131], a[34:35], v[98:99], v[128:131]// 000000007B48: D3F30080 0E02C522
	v_mfma_f32_16x16x32_fp8_fp8 v[128:131], a[36:37], v[100:101], v[128:131]// 000000007B50: D3F30080 0E02C924
	buffer_load_dword v20, v1, s[24:27], 0 offen               // 000000007B58: E0501000 80061401
	v_mfma_f32_16x16x32_fp8_fp8 v[128:131], a[38:39], v[102:103], v[128:131]// 000000007B60: D3F30080 0E02CD26
	v_mfma_f32_16x16x32_fp8_fp8 v[132:135], a[40:41], v[96:97], 0// 000000007B68: D3F30084 0A02C128
	buffer_load_dwordx4 a[4:7], v25, s[16:19], 0 offen offset:1024// 000000007B70: E05C1400 80840419
	v_mfma_f32_16x16x32_fp8_fp8 v[132:135], a[42:43], v[98:99], v[132:135]// 000000007B78: D3F30084 0E12C52A
	v_mfma_f32_16x16x32_fp8_fp8 v[132:135], a[44:45], v[100:101], v[132:135]// 000000007B80: D3F30084 0E12C92C
	v_mfma_f32_16x16x32_fp8_fp8 v[132:135], a[46:47], v[102:103], v[132:135]// 000000007B88: D3F30084 0E12CD2E
	v_mfma_f32_16x16x32_fp8_fp8 v[136:139], a[48:49], v[96:97], 0// 000000007B90: D3F30088 0A02C130
	buffer_load_dwordx4 a[8:11], v26, s[16:19], 0 offen        // 000000007B98: E05C1000 8084081A
	v_mfma_f32_16x16x32_fp8_fp8 v[136:139], a[50:51], v[98:99], v[136:139]// 000000007BA0: D3F30088 0E22C532
	v_mfma_f32_16x16x32_fp8_fp8 v[136:139], a[52:53], v[100:101], v[136:139]// 000000007BA8: D3F30088 0E22C934
	v_mfma_f32_16x16x32_fp8_fp8 v[136:139], a[54:55], v[102:103], v[136:139]// 000000007BB0: D3F30088 0E22CD36
	v_mfma_f32_16x16x32_fp8_fp8 v[140:143], a[56:57], v[96:97], 0// 000000007BB8: D3F3008C 0A02C138
	buffer_load_dwordx4 a[12:15], v26, s[16:19], 0 offen offset:1024// 000000007BC0: E05C1400 80840C1A
	v_mfma_f32_16x16x32_fp8_fp8 v[140:143], a[58:59], v[98:99], v[140:143]// 000000007BC8: D3F3008C 0E32C53A
	v_mfma_f32_16x16x32_fp8_fp8 v[140:143], a[60:61], v[100:101], v[140:143]// 000000007BD0: D3F3008C 0E32C93C
	v_mfma_f32_16x16x32_fp8_fp8 v[140:143], a[62:63], v[102:103], v[140:143]// 000000007BD8: D3F3008C 0E32CD3E
	buffer_load_dword v52, v2, s[32:35], 0 offen               // 000000007BE0: E0501000 80083402
	v_mov_b32_dpp v41, v53 row_shr:4 row_mask:0xf bank_mask:0xf// 000000007BE8: 7E5202FA FF011435
	v_mov_b32_dpp v42, v53 row_shl:4 row_mask:0xf bank_mask:0xf// 000000007BF0: 7E5402FA FF010435
	v_cndmask_b32_e64 v248, v53, v41, s[44:45]                 // 000000007BF8: D10000F8 00B25335
	v_cndmask_b32_e64 v249, v42, v53, s[44:45]                 // 000000007C00: D10000F9 00B26B2A
	v_mov_b32_dpp v41, v248 row_shr:8 row_mask:0xf bank_mask:0xf// 000000007C08: 7E5202FA FF0118F8
	v_mov_b32_dpp v42, v248 row_shl:8 row_mask:0xf bank_mask:0xf// 000000007C10: 7E5402FA FF0108F8
	v_mov_b32_dpp v43, v249 row_shr:8 row_mask:0xf bank_mask:0xf// 000000007C18: 7E5602FA FF0118F9
	v_mov_b32_dpp v44, v249 row_shl:8 row_mask:0xf bank_mask:0xf// 000000007C20: 7E5802FA FF0108F9
	v_mov_b32_e32 v45, v248                                    // 000000007C28: 7E5A03F8
	v_mov_b32_e32 v46, v249                                    // 000000007C2C: 7E5C03F9
	v_cndmask_b32_e64 v248, v45, v41, s[42:43]                 // 000000007C30: D10000F8 00AA532D
	v_cndmask_b32_e64 v250, v45, v42, s[78:79]                 // 000000007C38: D10000FA 013A552D
	v_cndmask_b32_e64 v249, v46, v43, s[42:43]                 // 000000007C40: D10000F9 00AA572E
	v_cndmask_b32_e64 v251, v46, v44, s[78:79]                 // 000000007C48: D10000FB 013A592E
	v_mov_b32_dpp v41, v73 row_shr:4 row_mask:0xf bank_mask:0xf// 000000007C50: 7E5202FA FF011449
	v_mov_b32_dpp v42, v73 row_shl:4 row_mask:0xf bank_mask:0xf// 000000007C58: 7E5402FA FF010449
	v_cndmask_b32_e64 v252, v73, v41, s[44:45]                 // 000000007C60: D10000FC 00B25349
	v_cndmask_b32_e64 v253, v42, v73, s[44:45]                 // 000000007C68: D10000FD 00B2932A
	v_mov_b32_dpp v41, v252 row_shr:8 row_mask:0xf bank_mask:0xf// 000000007C70: 7E5202FA FF0118FC
	v_mov_b32_dpp v42, v252 row_shl:8 row_mask:0xf bank_mask:0xf// 000000007C78: 7E5402FA FF0108FC
	v_mov_b32_dpp v43, v253 row_shr:8 row_mask:0xf bank_mask:0xf// 000000007C80: 7E5602FA FF0118FD
	v_mov_b32_dpp v44, v253 row_shl:8 row_mask:0xf bank_mask:0xf// 000000007C88: 7E5802FA FF0108FD
	v_mov_b32_e32 v45, v252                                    // 000000007C90: 7E5A03FC
	v_mov_b32_e32 v46, v253                                    // 000000007C94: 7E5C03FD
	v_cndmask_b32_e64 v252, v45, v41, s[42:43]                 // 000000007C98: D10000FC 00AA532D
	v_cndmask_b32_e64 v254, v45, v42, s[78:79]                 // 000000007CA0: D10000FE 013A552D
	v_cndmask_b32_e64 v253, v46, v43, s[42:43]                 // 000000007CA8: D10000FD 00AA572E
	v_cndmask_b32_e64 v255, v46, v44, s[78:79]                 // 000000007CB0: D10000FF 013A592E
	buffer_load_dword v72, v70, s[36:39], 0 offen              // 000000007CB8: E0501000 80094846
	v_mul_f32_e32 v128, v54, v128                              // 000000007CC0: 0B010136
	v_mul_f32_e32 v129, v54, v129                              // 000000007CC4: 0B030336
	v_mul_f32_e32 v130, v54, v130                              // 000000007CC8: 0B050536
	v_mul_f32_e32 v131, v54, v131                              // 000000007CCC: 0B070736
	v_mul_f32_e32 v132, v54, v132                              // 000000007CD0: 0B090936
	v_mul_f32_e32 v133, v54, v133                              // 000000007CD4: 0B0B0B36
	v_mul_f32_e32 v134, v54, v134                              // 000000007CD8: 0B0D0D36
	v_mul_f32_e32 v135, v54, v135                              // 000000007CDC: 0B0F0F36
	v_mul_f32_e32 v136, v54, v136                              // 000000007CE0: 0B111136
	v_mul_f32_e32 v137, v54, v137                              // 000000007CE4: 0B131336
	v_mul_f32_e32 v138, v54, v138                              // 000000007CE8: 0B151536
	v_mul_f32_e32 v139, v54, v139                              // 000000007CEC: 0B171736
	v_mul_f32_e32 v140, v54, v140                              // 000000007CF0: 0B191936
	v_mul_f32_e32 v141, v54, v141                              // 000000007CF4: 0B1B1B36
	v_mul_f32_e32 v142, v54, v142                              // 000000007CF8: 0B1D1D36
	v_mul_f32_e32 v143, v54, v143                              // 000000007CFC: 0B1F1F36
	buffer_load_dwordx4 a[16:19], v27, s[16:19], 0 offen       // 000000007D00: E05C1000 8084101B
	v_mul_f32_dpp v128, v248, v128 quad_perm:[0,0,0,0] row_mask:0xf bank_mask:0xf// 000000007D08: 0B0100FA FF0000F8
	v_mul_f32_dpp v129, v248, v129 quad_perm:[1,1,1,1] row_mask:0xf bank_mask:0xf// 000000007D10: 0B0302FA FF0055F8
	v_mul_f32_dpp v130, v248, v130 quad_perm:[2,2,2,2] row_mask:0xf bank_mask:0xf// 000000007D18: 0B0504FA FF00AAF8
	v_mul_f32_dpp v131, v248, v131 quad_perm:[3,3,3,3] row_mask:0xf bank_mask:0xf// 000000007D20: 0B0706FA FF00FFF8
	v_mul_f32_dpp v132, v249, v132 quad_perm:[0,0,0,0] row_mask:0xf bank_mask:0xf// 000000007D28: 0B0908FA FF0000F9
	v_mul_f32_dpp v133, v249, v133 quad_perm:[1,1,1,1] row_mask:0xf bank_mask:0xf// 000000007D30: 0B0B0AFA FF0055F9
	v_mul_f32_dpp v134, v249, v134 quad_perm:[2,2,2,2] row_mask:0xf bank_mask:0xf// 000000007D38: 0B0D0CFA FF00AAF9
	v_mul_f32_dpp v135, v249, v135 quad_perm:[3,3,3,3] row_mask:0xf bank_mask:0xf// 000000007D40: 0B0F0EFA FF00FFF9
	v_mul_f32_dpp v136, v250, v136 quad_perm:[0,0,0,0] row_mask:0xf bank_mask:0xf// 000000007D48: 0B1110FA FF0000FA
	v_mul_f32_dpp v137, v250, v137 quad_perm:[1,1,1,1] row_mask:0xf bank_mask:0xf// 000000007D50: 0B1312FA FF0055FA
	v_mul_f32_dpp v138, v250, v138 quad_perm:[2,2,2,2] row_mask:0xf bank_mask:0xf// 000000007D58: 0B1514FA FF00AAFA
	v_mul_f32_dpp v139, v250, v139 quad_perm:[3,3,3,3] row_mask:0xf bank_mask:0xf// 000000007D60: 0B1716FA FF00FFFA
	v_mul_f32_dpp v140, v251, v140 quad_perm:[0,0,0,0] row_mask:0xf bank_mask:0xf// 000000007D68: 0B1918FA FF0000FB
	v_mul_f32_dpp v141, v251, v141 quad_perm:[1,1,1,1] row_mask:0xf bank_mask:0xf// 000000007D70: 0B1B1AFA FF0055FB
	v_mul_f32_dpp v142, v251, v142 quad_perm:[2,2,2,2] row_mask:0xf bank_mask:0xf// 000000007D78: 0B1D1CFA FF00AAFB
	v_mul_f32_dpp v143, v251, v143 quad_perm:[3,3,3,3] row_mask:0xf bank_mask:0xf// 000000007D80: 0B1F1EFA FF00FFFB
	buffer_load_dwordx4 a[20:23], v27, s[16:19], 0 offen offset:1024// 000000007D88: E05C1400 8084141B
	v_mov_b32_e32 v62, v128                                    // 000000007D90: 7E7C0380
	v_max3_f32 v62, v128, v129, v62                            // 000000007D94: D1D3003E 04FB0380
	v_max3_f32 v62, v130, v131, v62                            // 000000007D9C: D1D3003E 04FB0782
	v_max3_f32 v62, v132, v133, v62                            // 000000007DA4: D1D3003E 04FB0B84
	v_max3_f32 v62, v134, v135, v62                            // 000000007DAC: D1D3003E 04FB0F86
	v_max3_f32 v62, v136, v137, v62                            // 000000007DB4: D1D3003E 04FB1388
	v_max3_f32 v62, v138, v139, v62                            // 000000007DBC: D1D3003E 04FB178A
	v_max3_f32 v62, v140, v141, v62                            // 000000007DC4: D1D3003E 04FB1B8C
	v_max3_f32 v62, v142, v143, v62                            // 000000007DCC: D1D3003E 04FB1F8E
	ds_write_b32 v11, v62 offset:16896                         // 000000007DD4: D81A4200 00003E0B
	buffer_load_dwordx4 a[24:27], v28, s[16:19], 0 offen       // 000000007DDC: E05C1000 8084181C
	v_mul_u32_u24_dpp v41, v19, v68 row_newbcast:1 row_mask:0xf bank_mask:0xf// 000000007DE4: 105288FA FF015113
	v_mul_u32_u24_dpp v42, v19, v68 row_newbcast:5 row_mask:0xf bank_mask:0xf// 000000007DEC: 105488FA FF015513
	v_mul_u32_u24_dpp v43, v19, v68 row_newbcast:9 row_mask:0xf bank_mask:0xf// 000000007DF4: 105688FA FF015913
	v_mul_u32_u24_dpp v44, v19, v68 row_newbcast:13 row_mask:0xf bank_mask:0xf// 000000007DFC: 105888FA FF015D13
	v_add_u32_e32 v33, v41, v7                                 // 000000007E04: 68420F29
	v_add_u32_e32 v34, v42, v7                                 // 000000007E08: 68440F2A
	v_add_u32_e32 v35, v43, v7                                 // 000000007E0C: 68460F2B
	v_add_u32_e32 v36, v44, v7                                 // 000000007E10: 68480F2C
	v_mul_f32_e32 v224, v63, v224                              // 000000007E14: 0BC1C13F
	v_mul_f32_e32 v225, v63, v225                              // 000000007E18: 0BC3C33F
	v_mul_f32_e32 v226, v63, v226                              // 000000007E1C: 0BC5C53F
	v_mul_f32_e32 v227, v63, v227                              // 000000007E20: 0BC7C73F
	v_mul_f32_e32 v228, v63, v228                              // 000000007E24: 0BC9C93F
	v_mul_f32_e32 v229, v63, v229                              // 000000007E28: 0BCBCB3F
	v_mul_f32_e32 v230, v63, v230                              // 000000007E2C: 0BCDCD3F
	v_mul_f32_e32 v231, v63, v231                              // 000000007E30: 0BCFCF3F
	s_waitcnt lgkmcnt(0)                                       // 000000007E34: BF8CC07F
	s_barrier                                                  // 000000007E38: BF8A0000
	ds_read_b32 v80, v10 offset:16896                          // 000000007E3C: D86C4200 5000000A
	ds_read_b32 v81, v10 offset:16960                          // 000000007E44: D86C4240 5100000A
	ds_read_b32 v82, v10 offset:17024                          // 000000007E4C: D86C4280 5200000A
	ds_read_b32 v83, v10 offset:17088                          // 000000007E54: D86C42C0 5300000A
	ds_read_b32 v84, v10 offset:17152                          // 000000007E5C: D86C4300 5400000A
	ds_read_b32 v85, v10 offset:17216                          // 000000007E64: D86C4340 5500000A
	ds_read_b32 v86, v10 offset:17280                          // 000000007E6C: D86C4380 5600000A
	ds_read_b32 v87, v10 offset:17344                          // 000000007E74: D86C43C0 5700000A
	ds_read_b32 v88, v10 offset:17408                          // 000000007E7C: D86C4400 5800000A
	ds_read_b32 v89, v10 offset:17472                          // 000000007E84: D86C4440 5900000A
	ds_read_b32 v90, v10 offset:17536                          // 000000007E8C: D86C4480 5A00000A
	ds_read_b32 v91, v10 offset:17600                          // 000000007E94: D86C44C0 5B00000A
	ds_read_b32 v92, v10 offset:17664                          // 000000007E9C: D86C4500 5C00000A
	ds_read_b32 v93, v10 offset:17728                          // 000000007EA4: D86C4540 5D00000A
	ds_read_b32 v94, v10 offset:17792                          // 000000007EAC: D86C4580 5E00000A
	ds_read_b32 v95, v10 offset:17856                          // 000000007EB4: D86C45C0 5F00000A
	buffer_load_dwordx4 a[28:31], v28, s[16:19], 0 offen offset:1024// 000000007EBC: E05C1400 80841C1C
	v_mul_f32_e32 v192, v58, v192                              // 000000007EC4: 0B81813A
	v_mul_f32_e32 v193, v58, v193                              // 000000007EC8: 0B83833A
	v_mul_f32_e32 v194, v58, v194                              // 000000007ECC: 0B85853A
	v_mul_f32_e32 v195, v58, v195                              // 000000007ED0: 0B87873A
	v_mul_f32_e32 v196, v58, v196                              // 000000007ED4: 0B89893A
	v_mul_f32_e32 v197, v58, v197                              // 000000007ED8: 0B8B8B3A
	v_mul_f32_e32 v198, v58, v198                              // 000000007EDC: 0B8D8D3A
	v_mul_f32_e32 v199, v58, v199                              // 000000007EE0: 0B8F8F3A
	s_waitcnt lgkmcnt(0)                                       // 000000007EE4: BF8CC07F
	v_max3_f32 v62, v80, v81, v62                              // 000000007EE8: D1D3003E 04FAA350
	v_max3_f32 v62, v82, v83, v62                              // 000000007EF0: D1D3003E 04FAA752
	v_max3_f32 v62, v84, v85, v62                              // 000000007EF8: D1D3003E 04FAAB54
	v_max3_f32 v62, v86, v87, v62                              // 000000007F00: D1D3003E 04FAAF56
	v_max3_f32 v62, v88, v89, v62                              // 000000007F08: D1D3003E 04FAB358
	v_max3_f32 v62, v90, v91, v62                              // 000000007F10: D1D3003E 04FAB75A
	v_max3_f32 v62, v92, v93, v62                              // 000000007F18: D1D3003E 04FABB5C
	v_max3_f32 v62, v94, v95, v62                              // 000000007F20: D1D3003E 04FABF5E
	buffer_load_dwordx4 a[64:67], v33, s[20:23], 0 offen       // 000000007F28: E05C1000 80854021
	v_mov_b32_e32 v41, 0xff800000                              // 000000007F30: 7E5202FF FF800000
	v_cmp_eq_u32_e64 s[40:41], v41, v14                        // 000000007F38: D0CA0028 00021D29
	s_nop 1                                                    // 000000007F40: BF800001
	v_max_f32_e32 v18, v62, v14                                // 000000007F44: 16241D3E
	v_mul_f32_e32 v67, s64, v18                                // 000000007F48: 0A862440
	v_fma_f32 v128, v128, s64, -v67                            // 000000007F4C: D1CB0080 850C8180
	v_fma_f32 v129, v129, s64, -v67                            // 000000007F54: D1CB0081 850C8181
	v_fma_f32 v130, v130, s64, -v67                            // 000000007F5C: D1CB0082 850C8182
	v_fma_f32 v131, v131, s64, -v67                            // 000000007F64: D1CB0083 850C8183
	v_fma_f32 v132, v132, s64, -v67                            // 000000007F6C: D1CB0084 850C8184
	v_fma_f32 v133, v133, s64, -v67                            // 000000007F74: D1CB0085 850C8185
	v_fma_f32 v134, v134, s64, -v67                            // 000000007F7C: D1CB0086 850C8186
	v_fma_f32 v135, v135, s64, -v67                            // 000000007F84: D1CB0087 850C8187
	v_fma_f32 v136, v136, s64, -v67                            // 000000007F8C: D1CB0088 850C8188
	v_fma_f32 v137, v137, s64, -v67                            // 000000007F94: D1CB0089 850C8189
	v_fma_f32 v138, v138, s64, -v67                            // 000000007F9C: D1CB008A 850C818A
	v_fma_f32 v139, v139, s64, -v67                            // 000000007FA4: D1CB008B 850C818B
	v_fma_f32 v140, v140, s64, -v67                            // 000000007FAC: D1CB008C 850C818C
	v_fma_f32 v141, v141, s64, -v67                            // 000000007FB4: D1CB008D 850C818D
	v_fma_f32 v142, v142, s64, -v67                            // 000000007FBC: D1CB008E 850C818E
	v_fma_f32 v143, v143, s64, -v67                            // 000000007FC4: D1CB008F 850C818F
	buffer_load_dwordx4 a[68:71], v34, s[20:23], 0 offen       // 000000007FCC: E05C1000 80854422
	v_exp_f32_e32 v128, v128                                   // 000000007FD4: 7F004180
	v_exp_f32_e32 v129, v129                                   // 000000007FD8: 7F024181
	v_exp_f32_e32 v130, v130                                   // 000000007FDC: 7F044182
	v_exp_f32_e32 v131, v131                                   // 000000007FE0: 7F064183
	v_exp_f32_e32 v132, v132                                   // 000000007FE4: 7F084184
	v_exp_f32_e32 v133, v133                                   // 000000007FE8: 7F0A4185
	v_exp_f32_e32 v134, v134                                   // 000000007FEC: 7F0C4186
	v_exp_f32_e32 v135, v135                                   // 000000007FF0: 7F0E4187
	v_exp_f32_e32 v136, v136                                   // 000000007FF4: 7F104188
	v_exp_f32_e32 v137, v137                                   // 000000007FF8: 7F124189
	v_exp_f32_e32 v138, v138                                   // 000000007FFC: 7F14418A
	v_exp_f32_e32 v139, v139                                   // 000000008000: 7F16418B
	v_exp_f32_e32 v140, v140                                   // 000000008004: 7F18418C
	v_exp_f32_e32 v141, v141                                   // 000000008008: 7F1A418D
	v_exp_f32_e32 v142, v142                                   // 00000000800C: 7F1C418E
	v_exp_f32_e32 v143, v143                                   // 000000008010: 7F1E418F
	buffer_load_dwordx4 a[72:75], v35, s[20:23], 0 offen       // 000000008014: E05C1000 80854823
	v_mul_f32_dpp v240, v252, v128 quad_perm:[0,0,0,0] row_mask:0xf bank_mask:0xf// 00000000801C: 0BE100FA FF0000FC
	v_mul_f32_dpp v241, v252, v129 quad_perm:[1,1,1,1] row_mask:0xf bank_mask:0xf// 000000008024: 0BE302FA FF0055FC
	v_mul_f32_dpp v242, v252, v130 quad_perm:[2,2,2,2] row_mask:0xf bank_mask:0xf// 00000000802C: 0BE504FA FF00AAFC
	v_mul_f32_dpp v243, v252, v131 quad_perm:[3,3,3,3] row_mask:0xf bank_mask:0xf// 000000008034: 0BE706FA FF00FFFC
	v_mul_f32_dpp v244, v253, v132 quad_perm:[0,0,0,0] row_mask:0xf bank_mask:0xf// 00000000803C: 0BE908FA FF0000FD
	v_mul_f32_dpp v245, v253, v133 quad_perm:[1,1,1,1] row_mask:0xf bank_mask:0xf// 000000008044: 0BEB0AFA FF0055FD
	v_mul_f32_dpp v246, v253, v134 quad_perm:[2,2,2,2] row_mask:0xf bank_mask:0xf// 00000000804C: 0BED0CFA FF00AAFD
	v_mul_f32_dpp v247, v253, v135 quad_perm:[3,3,3,3] row_mask:0xf bank_mask:0xf// 000000008054: 0BEF0EFA FF00FFFD
	v_mul_f32_dpp v248, v254, v136 quad_perm:[0,0,0,0] row_mask:0xf bank_mask:0xf// 00000000805C: 0BF110FA FF0000FE
	v_mul_f32_dpp v249, v254, v137 quad_perm:[1,1,1,1] row_mask:0xf bank_mask:0xf// 000000008064: 0BF312FA FF0055FE
	v_mul_f32_dpp v250, v254, v138 quad_perm:[2,2,2,2] row_mask:0xf bank_mask:0xf// 00000000806C: 0BF514FA FF00AAFE
	v_mul_f32_dpp v251, v254, v139 quad_perm:[3,3,3,3] row_mask:0xf bank_mask:0xf// 000000008074: 0BF716FA FF00FFFE
	v_mul_f32_dpp v252, v255, v140 quad_perm:[0,0,0,0] row_mask:0xf bank_mask:0xf// 00000000807C: 0BF918FA FF0000FF
	v_mul_f32_dpp v253, v255, v141 quad_perm:[1,1,1,1] row_mask:0xf bank_mask:0xf// 000000008084: 0BFB1AFA FF0055FF
	v_mul_f32_dpp v254, v255, v142 quad_perm:[2,2,2,2] row_mask:0xf bank_mask:0xf// 00000000808C: 0BFD1CFA FF00AAFF
	v_mul_f32_dpp v255, v255, v143 quad_perm:[3,3,3,3] row_mask:0xf bank_mask:0xf// 000000008094: 0BFF1EFA FF00FFFF
	v_mov_b32_e32 v62, 0x358637bd                              // 00000000809C: 7E7C02FF 358637BD
	v_max3_f32 v62, |v240|, |v241|, v62                        // 0000000080A4: D1D3033E 04FBE3F0
	v_max3_f32 v62, |v242|, |v243|, v62                        // 0000000080AC: D1D3033E 04FBE7F2
	v_max3_f32 v62, |v244|, |v245|, v62                        // 0000000080B4: D1D3033E 04FBEBF4
	v_max3_f32 v62, |v246|, |v247|, v62                        // 0000000080BC: D1D3033E 04FBEFF6
	v_max3_f32 v62, |v248|, |v249|, v62                        // 0000000080C4: D1D3033E 04FBF3F8
	v_max3_f32 v62, |v250|, |v251|, v62                        // 0000000080CC: D1D3033E 04FBF7FA
	v_max3_f32 v62, |v252|, |v253|, v62                        // 0000000080D4: D1D3033E 04FBFBFC
	v_max3_f32 v62, |v254|, |v255|, v62                        // 0000000080DC: D1D3033E 04FBFFFE
	buffer_load_dwordx4 a[76:79], v36, s[20:23], 0 offen       // 0000000080E4: E05C1000 80854C24
	ds_write_b32 v11, v62 offset:20992                         // 0000000080EC: D81A5200 00003E0B
	v_sub_f32_e32 v63, v14, v18                                // 0000000080F4: 047E250E
	v_cndmask_b32_e64 v63, v63, 0, s[40:41]                    // 0000000080F8: D100003F 00A1013F
	v_mov_b32_e32 v14, v18                                     // 000000008100: 7E1C0312
	v_mul_f32_e32 v63, s64, v63                                // 000000008104: 0A7E7E40
	v_exp_f32_e32 v63, v63                                     // 000000008108: 7E7E413F
	s_waitcnt lgkmcnt(0)                                       // 00000000810C: BF8CC07F
	s_barrier                                                  // 000000008110: BF8A0000
	ds_read_b32 v80, v10 offset:20992                          // 000000008114: D86C5200 5000000A
	ds_read_b32 v81, v10 offset:21056                          // 00000000811C: D86C5240 5100000A
	ds_read_b32 v82, v10 offset:21120                          // 000000008124: D86C5280 5200000A
	ds_read_b32 v83, v10 offset:21184                          // 00000000812C: D86C52C0 5300000A
	ds_read_b32 v84, v10 offset:21248                          // 000000008134: D86C5300 5400000A
	ds_read_b32 v85, v10 offset:21312                          // 00000000813C: D86C5340 5500000A
	ds_read_b32 v86, v10 offset:21376                          // 000000008144: D86C5380 5600000A
	ds_read_b32 v87, v10 offset:21440                          // 00000000814C: D86C53C0 5700000A
	ds_read_b32 v88, v10 offset:21504                          // 000000008154: D86C5400 5800000A
	ds_read_b32 v89, v10 offset:21568                          // 00000000815C: D86C5440 5900000A
	ds_read_b32 v90, v10 offset:21632                          // 000000008164: D86C5480 5A00000A
	ds_read_b32 v91, v10 offset:21696                          // 00000000816C: D86C54C0 5B00000A
	ds_read_b32 v92, v10 offset:21760                          // 000000008174: D86C5500 5C00000A
	ds_read_b32 v93, v10 offset:21824                          // 00000000817C: D86C5540 5D00000A
	ds_read_b32 v94, v10 offset:21888                          // 000000008184: D86C5580 5E00000A
	ds_read_b32 v95, v10 offset:21952                          // 00000000818C: D86C55C0 5F00000A
	v_mul_f32_e32 v47, v63, v47                                // 000000008194: 0A5E5F3F
	v_mov_b32_e32 v18, v128                                    // 000000008198: 7E240380
	v_add_f32_e32 v18, v129, v18                               // 00000000819C: 02242581
	v_add_f32_e32 v18, v130, v18                               // 0000000081A0: 02242582
	v_add_f32_e32 v18, v131, v18                               // 0000000081A4: 02242583
	v_add_f32_e32 v18, v132, v18                               // 0000000081A8: 02242584
	v_add_f32_e32 v18, v133, v18                               // 0000000081AC: 02242585
	v_add_f32_e32 v18, v134, v18                               // 0000000081B0: 02242586
	v_add_f32_e32 v18, v135, v18                               // 0000000081B4: 02242587
	v_add_f32_e32 v18, v136, v18                               // 0000000081B8: 02242588
	v_add_f32_e32 v18, v137, v18                               // 0000000081BC: 02242589
	v_add_f32_e32 v18, v138, v18                               // 0000000081C0: 0224258A
	v_add_f32_e32 v18, v139, v18                               // 0000000081C4: 0224258B
	v_add_f32_e32 v18, v140, v18                               // 0000000081C8: 0224258C
	v_add_f32_e32 v18, v141, v18                               // 0000000081CC: 0224258D
	v_add_f32_e32 v18, v142, v18                               // 0000000081D0: 0224258E
	v_add_f32_e32 v18, v143, v18                               // 0000000081D4: 0224258F
	v_add_f32_e32 v47, v18, v47                                // 0000000081D8: 025E5F12
	s_waitcnt lgkmcnt(0)                                       // 0000000081DC: BF8CC07F
	v_max3_f32 v62, |v80|, |v81|, v62                          // 0000000081E0: D1D3033E 04FAA350
	v_max3_f32 v62, |v82|, |v83|, v62                          // 0000000081E8: D1D3033E 04FAA752
	v_max3_f32 v62, |v84|, |v85|, v62                          // 0000000081F0: D1D3033E 04FAAB54
	v_max3_f32 v62, |v86|, |v87|, v62                          // 0000000081F8: D1D3033E 04FAAF56
	v_max3_f32 v62, |v88|, |v89|, v62                          // 000000008200: D1D3033E 04FAB358
	v_max3_f32 v62, |v90|, |v91|, v62                          // 000000008208: D1D3033E 04FAB75A
	v_max3_f32 v62, |v92|, |v93|, v62                          // 000000008210: D1D3033E 04FABB5C
	v_max3_f32 v62, |v94|, |v95|, v62                          // 000000008218: D1D3033E 04FABF5E
	s_nop 2                                                    // 000000008220: BF800002
	v_rcp_f32_e32 v62, v62                                     // 000000008224: 7E7C453E
	s_nop 1                                                    // 000000008228: BF800001
	v_mul_f32_e32 v62, 0x43700000, v62                         // 00000000822C: 0A7C7CFF 43700000
	v_mul_f32_e32 v128, v62, v240                              // 000000008234: 0B01E13E
	v_mul_f32_e32 v129, v62, v241                              // 000000008238: 0B03E33E
	v_mul_f32_e32 v130, v62, v242                              // 00000000823C: 0B05E53E
	v_mul_f32_e32 v131, v62, v243                              // 000000008240: 0B07E73E
	v_mul_f32_e32 v132, v62, v244                              // 000000008244: 0B09E93E
	v_mul_f32_e32 v133, v62, v245                              // 000000008248: 0B0BEB3E
	v_mul_f32_e32 v134, v62, v246                              // 00000000824C: 0B0DED3E
	v_mul_f32_e32 v135, v62, v247                              // 000000008250: 0B0FEF3E
	v_mul_f32_e32 v136, v62, v248                              // 000000008254: 0B11F13E
	v_mul_f32_e32 v137, v62, v249                              // 000000008258: 0B13F33E
	v_mul_f32_e32 v138, v62, v250                              // 00000000825C: 0B15F53E
	v_mul_f32_e32 v139, v62, v251                              // 000000008260: 0B17F73E
	v_mul_f32_e32 v140, v62, v252                              // 000000008264: 0B19F93E
	v_mul_f32_e32 v141, v62, v253                              // 000000008268: 0B1BFB3E
	v_mul_f32_e32 v142, v62, v254                              // 00000000826C: 0B1DFD3E
	v_mul_f32_e32 v143, v62, v255                              // 000000008270: 0B1FFF3E
	v_cvt_pk_fp8_f32 v128, v128, v129                          // 000000008274: D2A20080 00030380
	v_cvt_pk_fp8_f32 v128, v130, v131 op_sel:[0,0,1]           // 00000000827C: D2A24080 00030782
	v_cvt_pk_fp8_f32 v129, v132, v133                          // 000000008284: D2A20081 00030B84
	v_cvt_pk_fp8_f32 v129, v134, v135 op_sel:[0,0,1]           // 00000000828C: D2A24081 00030F86
	v_cvt_pk_fp8_f32 v130, v136, v137                          // 000000008294: D2A20082 00031388
	v_cvt_pk_fp8_f32 v130, v138, v139 op_sel:[0,0,1]           // 00000000829C: D2A24082 0003178A
	v_cvt_pk_fp8_f32 v131, v140, v141                          // 0000000082A4: D2A20083 00031B8C
	v_cvt_pk_fp8_f32 v131, v142, v143 op_sel:[0,0,1]           // 0000000082AC: D2A24083 00031F8E
	ds_write_b32 v13, v128 offset:25088                        // 0000000082B4: D81A6200 0000800D
	ds_write_b32 v13, v129 offset:26112                        // 0000000082BC: D81A6600 0000810D
	ds_write_b32 v13, v130 offset:27136                        // 0000000082C4: D81A6A00 0000820D
	ds_write_b32 v13, v131 offset:28160                        // 0000000082CC: D81A6E00 0000830D
	v_add_f32_e32 v224, v224, v192                             // 0000000082D4: 03C181E0
	v_add_f32_e32 v225, v225, v193                             // 0000000082D8: 03C383E1
	v_add_f32_e32 v226, v226, v194                             // 0000000082DC: 03C585E2
	v_add_f32_e32 v227, v227, v195                             // 0000000082E0: 03C787E3
	v_add_f32_e32 v228, v228, v196                             // 0000000082E4: 03C989E4
	v_add_f32_e32 v229, v229, v197                             // 0000000082E8: 03CB8BE5
	v_add_f32_e32 v230, v230, v198                             // 0000000082EC: 03CD8DE6
	v_add_f32_e32 v231, v231, v199                             // 0000000082F0: 03CF8FE7
	v_rcp_f32_e32 v58, v62                                     // 0000000082F4: 7E74453E
	s_waitcnt lgkmcnt(0)                                       // 0000000082F8: BF8CC07F
	s_barrier                                                  // 0000000082FC: BF8A0000
	ds_read_b64 v[128:129], v12 offset:25088                   // 000000008300: D8EC6200 8000000C
	ds_read_b64 v[130:131], v12 offset:25216                   // 000000008308: D8EC6280 8200000C
	ds_read_b64 v[132:133], v12 offset:26112                   // 000000008310: D8EC6600 8400000C
	ds_read_b64 v[134:135], v12 offset:26240                   // 000000008318: D8EC6680 8600000C
	ds_read_b64 v[136:137], v12 offset:27136                   // 000000008320: D8EC6A00 8800000C
	ds_read_b64 v[138:139], v12 offset:27264                   // 000000008328: D8EC6A80 8A00000C
	ds_read_b64 v[140:141], v12 offset:28160                   // 000000008330: D8EC6E00 8C00000C
	ds_read_b64 v[142:143], v12 offset:28288                   // 000000008338: D8EC6E80 8E00000C
	s_waitcnt vmcnt(15)                                        // 000000008340: BF8C0F7F
	s_waitcnt lgkmcnt(7)                                       // 000000008344: BF8CC77F
	v_mfma_f32_16x16x32_fp8_fp8 v[192:195], a[96:97], v[128:129], 0// 000000008348: D3F300C0 0A030160
	buffer_load_dwordx4 a[80:83], v33, s[20:23], 0 offen offset:1024// 000000008350: E05C1400 80855021
	s_waitcnt lgkmcnt(6)                                       // 000000008358: BF8CC67F
	v_mfma_f32_16x16x32_fp8_fp8 v[192:195], a[98:99], v[130:131], v[192:195]// 00000000835C: D3F300C0 0F030562
	s_waitcnt lgkmcnt(5)                                       // 000000008364: BF8CC57F
	v_mfma_f32_16x16x32_fp8_fp8 v[192:195], a[100:101], v[132:133], v[192:195]// 000000008368: D3F300C0 0F030964
	s_waitcnt lgkmcnt(4)                                       // 000000008370: BF8CC47F
	v_mfma_f32_16x16x32_fp8_fp8 v[192:195], a[102:103], v[134:135], v[192:195]// 000000008374: D3F300C0 0F030D66
	s_waitcnt lgkmcnt(3)                                       // 00000000837C: BF8CC37F
	v_mfma_f32_16x16x32_fp8_fp8 v[192:195], a[104:105], v[136:137], v[192:195]// 000000008380: D3F300C0 0F031168
	buffer_load_dwordx4 a[84:87], v34, s[20:23], 0 offen offset:1024// 000000008388: E05C1400 80855422
	s_waitcnt lgkmcnt(2)                                       // 000000008390: BF8CC27F
	v_mfma_f32_16x16x32_fp8_fp8 v[192:195], a[106:107], v[138:139], v[192:195]// 000000008394: D3F300C0 0F03156A
	s_waitcnt lgkmcnt(1)                                       // 00000000839C: BF8CC17F
	v_mfma_f32_16x16x32_fp8_fp8 v[192:195], a[108:109], v[140:141], v[192:195]// 0000000083A0: D3F300C0 0F03196C
	s_waitcnt lgkmcnt(0)                                       // 0000000083A8: BF8CC07F
	v_mfma_f32_16x16x32_fp8_fp8 v[192:195], a[110:111], v[142:143], v[192:195]// 0000000083AC: D3F300C0 0F031D6E
	v_mfma_f32_16x16x32_fp8_fp8 v[196:199], a[112:113], v[128:129], 0// 0000000083B4: D3F300C4 0A030170
	buffer_load_dwordx4 a[88:91], v35, s[20:23], 0 offen offset:1024// 0000000083BC: E05C1400 80855823
	v_mfma_f32_16x16x32_fp8_fp8 v[196:199], a[114:115], v[130:131], v[196:199]// 0000000083C4: D3F300C4 0F130572
	v_mfma_f32_16x16x32_fp8_fp8 v[196:199], a[116:117], v[132:133], v[196:199]// 0000000083CC: D3F300C4 0F130974
	v_mfma_f32_16x16x32_fp8_fp8 v[196:199], a[118:119], v[134:135], v[196:199]// 0000000083D4: D3F300C4 0F130D76
	v_mfma_f32_16x16x32_fp8_fp8 v[196:199], a[120:121], v[136:137], v[196:199]// 0000000083DC: D3F300C4 0F131178
	buffer_load_dwordx4 a[92:95], v36, s[20:23], 0 offen offset:1024// 0000000083E4: E05C1400 80855C24
	v_mfma_f32_16x16x32_fp8_fp8 v[196:199], a[122:123], v[138:139], v[196:199]// 0000000083EC: D3F300C4 0F13157A
	v_mfma_f32_16x16x32_fp8_fp8 v[196:199], a[124:125], v[140:141], v[196:199]// 0000000083F4: D3F300C4 0F13197C
	s_lshr_b32 s57, s70, 4                                     // 0000000083FC: 8F398446
	s_add_u32 s57, 48, s57                                     // 000000008400: 803939B0
	v_mfma_f32_16x16x32_fp8_fp8 v[196:199], a[126:127], v[142:143], v[196:199]// 000000008404: D3F300C4 0F131D7E
	s_cmp_ge_u32 s57, s73                                      // 00000000840C: BF094939
	s_cselect_b32 s56, 0, s56                                  // 000000008410: 85383880
	v_add_u32_e32 v1, s56, v1                                  // 000000008414: 68020238
	s_addk_i32 s70, 0x100                                      // 000000008418: B7460100
	s_cmp_lt_i32 s70, s71                                      // 00000000841C: BF044746
	s_cbranch_scc0 label_13EA                                  // 000000008420: BF84FB61
	s_branch label_13ED                                        // 000000008424: BF82FB63

0000000000008428 <label_188A>:
	s_lshr_b32 s60, s71, 4                                     // 000000008428: 8F3C8447
	s_cmp_eq_i32 s60, s73                                      // 00000000842C: BF00493C
	s_cbranch_scc1 label_1D8D                                  // 000000008430: BF850500
	s_lshr_b32 s60, s71, 8                                     // 000000008434: 8F3C8847
	s_and_b32 s60, s60, 1                                      // 000000008438: 863C813C
	s_cmp_eq_i32 s60, 1                                        // 00000000843C: BF00813C
	s_cbranch_scc1 label_1B0F                                  // 000000008440: BF85027E
	s_waitcnt vmcnt(8) lgkmcnt(0)                              // 000000008444: BF8C0078
	s_barrier                                                  // 000000008448: BF8A0000
	v_mfma_f32_16x16x32_fp8_fp8 v[128:131], a[0:1], v[96:97], 0// 00000000844C: D3F30080 0A02C100
	v_mfma_f32_16x16x32_fp8_fp8 v[128:131], a[2:3], v[98:99], v[128:131]// 000000008454: D3F30080 0E02C502
	v_mfma_f32_16x16x32_fp8_fp8 v[128:131], a[4:5], v[100:101], v[128:131]// 00000000845C: D3F30080 0E02C904
	v_mfma_f32_16x16x32_fp8_fp8 v[128:131], a[6:7], v[102:103], v[128:131]// 000000008464: D3F30080 0E02CD06
	v_mfma_f32_16x16x32_fp8_fp8 v[132:135], a[8:9], v[96:97], 0// 00000000846C: D3F30084 0A02C108
	v_mfma_f32_16x16x32_fp8_fp8 v[132:135], a[10:11], v[98:99], v[132:135]// 000000008474: D3F30084 0E12C50A
	v_mfma_f32_16x16x32_fp8_fp8 v[132:135], a[12:13], v[100:101], v[132:135]// 00000000847C: D3F30084 0E12C90C
	v_mfma_f32_16x16x32_fp8_fp8 v[132:135], a[14:15], v[102:103], v[132:135]// 000000008484: D3F30084 0E12CD0E
	v_mfma_f32_16x16x32_fp8_fp8 v[136:139], a[16:17], v[96:97], 0// 00000000848C: D3F30088 0A02C110
	v_mfma_f32_16x16x32_fp8_fp8 v[136:139], a[18:19], v[98:99], v[136:139]// 000000008494: D3F30088 0E22C512
	v_mfma_f32_16x16x32_fp8_fp8 v[136:139], a[20:21], v[100:101], v[136:139]// 00000000849C: D3F30088 0E22C914
	v_mfma_f32_16x16x32_fp8_fp8 v[136:139], a[22:23], v[102:103], v[136:139]// 0000000084A4: D3F30088 0E22CD16
	v_mfma_f32_16x16x32_fp8_fp8 v[140:143], a[24:25], v[96:97], 0// 0000000084AC: D3F3008C 0A02C118
	v_mfma_f32_16x16x32_fp8_fp8 v[140:143], a[26:27], v[98:99], v[140:143]// 0000000084B4: D3F3008C 0E32C51A
	v_mfma_f32_16x16x32_fp8_fp8 v[140:143], a[28:29], v[100:101], v[140:143]// 0000000084BC: D3F3008C 0E32C91C
	v_mfma_f32_16x16x32_fp8_fp8 v[140:143], a[30:31], v[102:103], v[140:143]// 0000000084C4: D3F3008C 0E32CD1E
	v_mov_b32_dpp v41, v52 row_shr:4 row_mask:0xf bank_mask:0xf// 0000000084CC: 7E5202FA FF011434
	v_mov_b32_dpp v42, v52 row_shl:4 row_mask:0xf bank_mask:0xf// 0000000084D4: 7E5402FA FF010434
	v_cndmask_b32_e64 v248, v52, v41, s[44:45]                 // 0000000084DC: D10000F8 00B25334
	v_cndmask_b32_e64 v249, v42, v52, s[44:45]                 // 0000000084E4: D10000F9 00B2692A
	v_mov_b32_dpp v41, v248 row_shr:8 row_mask:0xf bank_mask:0xf// 0000000084EC: 7E5202FA FF0118F8
	v_mov_b32_dpp v42, v248 row_shl:8 row_mask:0xf bank_mask:0xf// 0000000084F4: 7E5402FA FF0108F8
	v_mov_b32_dpp v43, v249 row_shr:8 row_mask:0xf bank_mask:0xf// 0000000084FC: 7E5602FA FF0118F9
	v_mov_b32_dpp v44, v249 row_shl:8 row_mask:0xf bank_mask:0xf// 000000008504: 7E5802FA FF0108F9
	v_mov_b32_e32 v45, v248                                    // 00000000850C: 7E5A03F8
	v_mov_b32_e32 v46, v249                                    // 000000008510: 7E5C03F9
	v_cndmask_b32_e64 v248, v45, v41, s[42:43]                 // 000000008514: D10000F8 00AA532D
	v_cndmask_b32_e64 v250, v45, v42, s[78:79]                 // 00000000851C: D10000FA 013A552D
	v_cndmask_b32_e64 v249, v46, v43, s[42:43]                 // 000000008524: D10000F9 00AA572E
	v_cndmask_b32_e64 v251, v46, v44, s[78:79]                 // 00000000852C: D10000FB 013A592E
	v_mov_b32_dpp v41, v72 row_shr:4 row_mask:0xf bank_mask:0xf// 000000008534: 7E5202FA FF011448
	v_mov_b32_dpp v42, v72 row_shl:4 row_mask:0xf bank_mask:0xf// 00000000853C: 7E5402FA FF010448
	v_cndmask_b32_e64 v252, v72, v41, s[44:45]                 // 000000008544: D10000FC 00B25348
	v_cndmask_b32_e64 v253, v42, v72, s[44:45]                 // 00000000854C: D10000FD 00B2912A
	v_mov_b32_dpp v41, v252 row_shr:8 row_mask:0xf bank_mask:0xf// 000000008554: 7E5202FA FF0118FC
	v_mov_b32_dpp v42, v252 row_shl:8 row_mask:0xf bank_mask:0xf// 00000000855C: 7E5402FA FF0108FC
	v_mov_b32_dpp v43, v253 row_shr:8 row_mask:0xf bank_mask:0xf// 000000008564: 7E5602FA FF0118FD
	v_mov_b32_dpp v44, v253 row_shl:8 row_mask:0xf bank_mask:0xf// 00000000856C: 7E5802FA FF0108FD
	v_mov_b32_e32 v45, v252                                    // 000000008574: 7E5A03FC
	v_mov_b32_e32 v46, v253                                    // 000000008578: 7E5C03FD
	v_cndmask_b32_e64 v252, v45, v41, s[42:43]                 // 00000000857C: D10000FC 00AA532D
	v_cndmask_b32_e64 v254, v45, v42, s[78:79]                 // 000000008584: D10000FE 013A552D
	v_cndmask_b32_e64 v253, v46, v43, s[42:43]                 // 00000000858C: D10000FD 00AA572E
	v_cndmask_b32_e64 v255, v46, v44, s[78:79]                 // 000000008594: D10000FF 013A592E
	v_mul_f32_e32 v128, v54, v128                              // 00000000859C: 0B010136
	v_mul_f32_e32 v129, v54, v129                              // 0000000085A0: 0B030336
	v_mul_f32_e32 v130, v54, v130                              // 0000000085A4: 0B050536
	v_mul_f32_e32 v131, v54, v131                              // 0000000085A8: 0B070736
	v_mul_f32_e32 v132, v54, v132                              // 0000000085AC: 0B090936
	v_mul_f32_e32 v133, v54, v133                              // 0000000085B0: 0B0B0B36
	v_mul_f32_e32 v134, v54, v134                              // 0000000085B4: 0B0D0D36
	v_mul_f32_e32 v135, v54, v135                              // 0000000085B8: 0B0F0F36
	v_mul_f32_e32 v136, v54, v136                              // 0000000085BC: 0B111136
	v_mul_f32_e32 v137, v54, v137                              // 0000000085C0: 0B131336
	v_mul_f32_e32 v138, v54, v138                              // 0000000085C4: 0B151536
	v_mul_f32_e32 v139, v54, v139                              // 0000000085C8: 0B171736
	v_mul_f32_e32 v140, v54, v140                              // 0000000085CC: 0B191936
	v_mul_f32_e32 v141, v54, v141                              // 0000000085D0: 0B1B1B36
	v_mul_f32_e32 v142, v54, v142                              // 0000000085D4: 0B1D1D36
	v_mul_f32_e32 v143, v54, v143                              // 0000000085D8: 0B1F1F36
	v_mul_f32_dpp v128, v248, v128 quad_perm:[0,0,0,0] row_mask:0xf bank_mask:0xf// 0000000085DC: 0B0100FA FF0000F8
	v_mul_f32_dpp v129, v248, v129 quad_perm:[1,1,1,1] row_mask:0xf bank_mask:0xf// 0000000085E4: 0B0302FA FF0055F8
	v_mul_f32_dpp v130, v248, v130 quad_perm:[2,2,2,2] row_mask:0xf bank_mask:0xf// 0000000085EC: 0B0504FA FF00AAF8
	v_mul_f32_dpp v131, v248, v131 quad_perm:[3,3,3,3] row_mask:0xf bank_mask:0xf// 0000000085F4: 0B0706FA FF00FFF8
	v_mul_f32_dpp v132, v249, v132 quad_perm:[0,0,0,0] row_mask:0xf bank_mask:0xf// 0000000085FC: 0B0908FA FF0000F9
	v_mul_f32_dpp v133, v249, v133 quad_perm:[1,1,1,1] row_mask:0xf bank_mask:0xf// 000000008604: 0B0B0AFA FF0055F9
	v_mul_f32_dpp v134, v249, v134 quad_perm:[2,2,2,2] row_mask:0xf bank_mask:0xf// 00000000860C: 0B0D0CFA FF00AAF9
	v_mul_f32_dpp v135, v249, v135 quad_perm:[3,3,3,3] row_mask:0xf bank_mask:0xf// 000000008614: 0B0F0EFA FF00FFF9
	v_mul_f32_dpp v136, v250, v136 quad_perm:[0,0,0,0] row_mask:0xf bank_mask:0xf// 00000000861C: 0B1110FA FF0000FA
	v_mul_f32_dpp v137, v250, v137 quad_perm:[1,1,1,1] row_mask:0xf bank_mask:0xf// 000000008624: 0B1312FA FF0055FA
	v_mul_f32_dpp v138, v250, v138 quad_perm:[2,2,2,2] row_mask:0xf bank_mask:0xf// 00000000862C: 0B1514FA FF00AAFA
	v_mul_f32_dpp v139, v250, v139 quad_perm:[3,3,3,3] row_mask:0xf bank_mask:0xf// 000000008634: 0B1716FA FF00FFFA
	v_mul_f32_dpp v140, v251, v140 quad_perm:[0,0,0,0] row_mask:0xf bank_mask:0xf// 00000000863C: 0B1918FA FF0000FB
	v_mul_f32_dpp v141, v251, v141 quad_perm:[1,1,1,1] row_mask:0xf bank_mask:0xf// 000000008644: 0B1B1AFA FF0055FB
	v_mul_f32_dpp v142, v251, v142 quad_perm:[2,2,2,2] row_mask:0xf bank_mask:0xf// 00000000864C: 0B1D1CFA FF00AAFB
	v_mul_f32_dpp v143, v251, v143 quad_perm:[3,3,3,3] row_mask:0xf bank_mask:0xf// 000000008654: 0B1F1EFA FF00FFFB
	s_and_b32 s60, s72, 0xff                                   // 00000000865C: 863CFF48 000000FF
	v_mov_b32_e32 v42, s60                                     // 000000008664: 7E54023C
	v_lshrrev_b32_e32 v240, 4, v0                              // 000000008668: 21E00084
	v_mul_i32_i24_e32 v240, 4, v240                            // 00000000866C: 0DE1E084
	s_mul_i32 s60, s7, 16                                      // 000000008670: 923C9007
	v_add_u32_e32 v240, s60, v240                              // 000000008674: 69E1E03C
	v_add_u32_e32 v241, 1, v240                                // 000000008678: 69E3E081
	v_add_u32_e32 v242, 2, v240                                // 00000000867C: 69E5E082
	v_add_u32_e32 v243, 3, v240                                // 000000008680: 69E7E083
	v_mov_b32_e32 v41, 0xff800000                              // 000000008684: 7E5202FF FF800000
	v_cmp_lt_u32_e64 s[40:41], v240, v42                       // 00000000868C: D0C90028 000255F0
	v_add_u32_e32 v240, 64, v240                               // 000000008694: 69E1E0C0
	s_nop 0                                                    // 000000008698: BF800000
	v_cndmask_b32_e64 v128, v41, v128, s[40:41]                // 00000000869C: D1000080 00A30129
	v_cmp_lt_u32_e64 s[40:41], v241, v42                       // 0000000086A4: D0C90028 000255F1
	v_add_u32_e32 v241, 64, v241                               // 0000000086AC: 69E3E2C0
	s_nop 0                                                    // 0000000086B0: BF800000
	v_cndmask_b32_e64 v129, v41, v129, s[40:41]                // 0000000086B4: D1000081 00A30329
	v_cmp_lt_u32_e64 s[40:41], v242, v42                       // 0000000086BC: D0C90028 000255F2
	v_add_u32_e32 v242, 64, v242                               // 0000000086C4: 69E5E4C0
	s_nop 0                                                    // 0000000086C8: BF800000
	v_cndmask_b32_e64 v130, v41, v130, s[40:41]                // 0000000086CC: D1000082 00A30529
	v_cmp_lt_u32_e64 s[40:41], v243, v42                       // 0000000086D4: D0C90028 000255F3
	v_add_u32_e32 v243, 64, v243                               // 0000000086DC: 69E7E6C0
	s_nop 0                                                    // 0000000086E0: BF800000
	v_cndmask_b32_e64 v131, v41, v131, s[40:41]                // 0000000086E4: D1000083 00A30729
	v_cmp_lt_u32_e64 s[40:41], v240, v42                       // 0000000086EC: D0C90028 000255F0
	v_add_u32_e32 v240, 64, v240                               // 0000000086F4: 69E1E0C0
	s_nop 0                                                    // 0000000086F8: BF800000
	v_cndmask_b32_e64 v132, v41, v132, s[40:41]                // 0000000086FC: D1000084 00A30929
	v_cmp_lt_u32_e64 s[40:41], v241, v42                       // 000000008704: D0C90028 000255F1
	v_add_u32_e32 v241, 64, v241                               // 00000000870C: 69E3E2C0
	s_nop 0                                                    // 000000008710: BF800000
	v_cndmask_b32_e64 v133, v41, v133, s[40:41]                // 000000008714: D1000085 00A30B29
	v_cmp_lt_u32_e64 s[40:41], v242, v42                       // 00000000871C: D0C90028 000255F2
	v_add_u32_e32 v242, 64, v242                               // 000000008724: 69E5E4C0
	s_nop 0                                                    // 000000008728: BF800000
	v_cndmask_b32_e64 v134, v41, v134, s[40:41]                // 00000000872C: D1000086 00A30D29
	v_cmp_lt_u32_e64 s[40:41], v243, v42                       // 000000008734: D0C90028 000255F3
	v_add_u32_e32 v243, 64, v243                               // 00000000873C: 69E7E6C0
	s_nop 0                                                    // 000000008740: BF800000
	v_cndmask_b32_e64 v135, v41, v135, s[40:41]                // 000000008744: D1000087 00A30F29
	v_cmp_lt_u32_e64 s[40:41], v240, v42                       // 00000000874C: D0C90028 000255F0
	v_add_u32_e32 v240, 64, v240                               // 000000008754: 69E1E0C0
	s_nop 0                                                    // 000000008758: BF800000
	v_cndmask_b32_e64 v136, v41, v136, s[40:41]                // 00000000875C: D1000088 00A31129
	v_cmp_lt_u32_e64 s[40:41], v241, v42                       // 000000008764: D0C90028 000255F1
	v_add_u32_e32 v241, 64, v241                               // 00000000876C: 69E3E2C0
	s_nop 0                                                    // 000000008770: BF800000
	v_cndmask_b32_e64 v137, v41, v137, s[40:41]                // 000000008774: D1000089 00A31329
	v_cmp_lt_u32_e64 s[40:41], v242, v42                       // 00000000877C: D0C90028 000255F2
	v_add_u32_e32 v242, 64, v242                               // 000000008784: 69E5E4C0
	s_nop 0                                                    // 000000008788: BF800000
	v_cndmask_b32_e64 v138, v41, v138, s[40:41]                // 00000000878C: D100008A 00A31529
	v_cmp_lt_u32_e64 s[40:41], v243, v42                       // 000000008794: D0C90028 000255F3
	v_add_u32_e32 v243, 64, v243                               // 00000000879C: 69E7E6C0
	s_nop 0                                                    // 0000000087A0: BF800000
	v_cndmask_b32_e64 v139, v41, v139, s[40:41]                // 0000000087A4: D100008B 00A31729
	v_cmp_lt_u32_e64 s[40:41], v240, v42                       // 0000000087AC: D0C90028 000255F0
	v_add_u32_e32 v240, 64, v240                               // 0000000087B4: 69E1E0C0
	s_nop 0                                                    // 0000000087B8: BF800000
	v_cndmask_b32_e64 v140, v41, v140, s[40:41]                // 0000000087BC: D100008C 00A31929
	v_cmp_lt_u32_e64 s[40:41], v241, v42                       // 0000000087C4: D0C90028 000255F1
	v_add_u32_e32 v241, 64, v241                               // 0000000087CC: 69E3E2C0
	s_nop 0                                                    // 0000000087D0: BF800000
	v_cndmask_b32_e64 v141, v41, v141, s[40:41]                // 0000000087D4: D100008D 00A31B29
	v_cmp_lt_u32_e64 s[40:41], v242, v42                       // 0000000087DC: D0C90028 000255F2
	v_add_u32_e32 v242, 64, v242                               // 0000000087E4: 69E5E4C0
	s_nop 0                                                    // 0000000087E8: BF800000
	v_cndmask_b32_e64 v142, v41, v142, s[40:41]                // 0000000087EC: D100008E 00A31D29
	v_cmp_lt_u32_e64 s[40:41], v243, v42                       // 0000000087F4: D0C90028 000255F3
	v_add_u32_e32 v243, 64, v243                               // 0000000087FC: 69E7E6C0
	s_nop 0                                                    // 000000008800: BF800000
	v_cndmask_b32_e64 v143, v41, v143, s[40:41]                // 000000008804: D100008F 00A31F29
	v_mov_b32_e32 v62, v128                                    // 00000000880C: 7E7C0380
	v_max3_f32 v62, v128, v129, v62                            // 000000008810: D1D3003E 04FB0380
	v_max3_f32 v62, v130, v131, v62                            // 000000008818: D1D3003E 04FB0782
	v_max3_f32 v62, v132, v133, v62                            // 000000008820: D1D3003E 04FB0B84
	v_max3_f32 v62, v134, v135, v62                            // 000000008828: D1D3003E 04FB0F86
	v_max3_f32 v62, v136, v137, v62                            // 000000008830: D1D3003E 04FB1388
	v_max3_f32 v62, v138, v139, v62                            // 000000008838: D1D3003E 04FB178A
	v_max3_f32 v62, v140, v141, v62                            // 000000008840: D1D3003E 04FB1B8C
	v_max3_f32 v62, v142, v143, v62                            // 000000008848: D1D3003E 04FB1F8E
	ds_write_b32 v11, v62 offset:16896                         // 000000008850: D81A4200 00003E0B
	v_mul_u32_u24_dpp v41, v20, v68 row_newbcast:1 row_mask:0xf bank_mask:0xf// 000000008858: 105288FA FF015114
	v_mul_u32_u24_dpp v42, v20, v68 row_newbcast:5 row_mask:0xf bank_mask:0xf// 000000008860: 105488FA FF015514
	v_mul_u32_u24_dpp v43, v20, v68 row_newbcast:9 row_mask:0xf bank_mask:0xf// 000000008868: 105688FA FF015914
	v_mul_u32_u24_dpp v44, v20, v68 row_newbcast:13 row_mask:0xf bank_mask:0xf// 000000008870: 105888FA FF015D14
	v_add_u32_e32 v37, v41, v7                                 // 000000008878: 684A0F29
	v_add_u32_e32 v38, v42, v7                                 // 00000000887C: 684C0F2A
	v_add_u32_e32 v39, v43, v7                                 // 000000008880: 684E0F2B
	v_add_u32_e32 v40, v44, v7                                 // 000000008884: 68500F2C
	v_mul_f32_e32 v224, v63, v224                              // 000000008888: 0BC1C13F
	v_mul_f32_e32 v225, v63, v225                              // 00000000888C: 0BC3C33F
	v_mul_f32_e32 v226, v63, v226                              // 000000008890: 0BC5C53F
	v_mul_f32_e32 v227, v63, v227                              // 000000008894: 0BC7C73F
	v_mul_f32_e32 v228, v63, v228                              // 000000008898: 0BC9C93F
	v_mul_f32_e32 v229, v63, v229                              // 00000000889C: 0BCBCB3F
	v_mul_f32_e32 v230, v63, v230                              // 0000000088A0: 0BCDCD3F
	v_mul_f32_e32 v231, v63, v231                              // 0000000088A4: 0BCFCF3F
	s_waitcnt lgkmcnt(0)                                       // 0000000088A8: BF8CC07F
	s_barrier                                                  // 0000000088AC: BF8A0000
	ds_read_b32 v80, v10 offset:16896                          // 0000000088B0: D86C4200 5000000A
	ds_read_b32 v81, v10 offset:16960                          // 0000000088B8: D86C4240 5100000A
	ds_read_b32 v82, v10 offset:17024                          // 0000000088C0: D86C4280 5200000A
	ds_read_b32 v83, v10 offset:17088                          // 0000000088C8: D86C42C0 5300000A
	ds_read_b32 v84, v10 offset:17152                          // 0000000088D0: D86C4300 5400000A
	ds_read_b32 v85, v10 offset:17216                          // 0000000088D8: D86C4340 5500000A
	ds_read_b32 v86, v10 offset:17280                          // 0000000088E0: D86C4380 5600000A
	ds_read_b32 v87, v10 offset:17344                          // 0000000088E8: D86C43C0 5700000A
	ds_read_b32 v88, v10 offset:17408                          // 0000000088F0: D86C4400 5800000A
	ds_read_b32 v89, v10 offset:17472                          // 0000000088F8: D86C4440 5900000A
	ds_read_b32 v90, v10 offset:17536                          // 000000008900: D86C4480 5A00000A
	ds_read_b32 v91, v10 offset:17600                          // 000000008908: D86C44C0 5B00000A
	ds_read_b32 v92, v10 offset:17664                          // 000000008910: D86C4500 5C00000A
	ds_read_b32 v93, v10 offset:17728                          // 000000008918: D86C4540 5D00000A
	ds_read_b32 v94, v10 offset:17792                          // 000000008920: D86C4580 5E00000A
	ds_read_b32 v95, v10 offset:17856                          // 000000008928: D86C45C0 5F00000A
	v_mul_f32_e32 v192, v58, v192                              // 000000008930: 0B81813A
	v_mul_f32_e32 v193, v58, v193                              // 000000008934: 0B83833A
	v_mul_f32_e32 v194, v58, v194                              // 000000008938: 0B85853A
	v_mul_f32_e32 v195, v58, v195                              // 00000000893C: 0B87873A
	v_mul_f32_e32 v196, v58, v196                              // 000000008940: 0B89893A
	v_mul_f32_e32 v197, v58, v197                              // 000000008944: 0B8B8B3A
	v_mul_f32_e32 v198, v58, v198                              // 000000008948: 0B8D8D3A
	v_mul_f32_e32 v199, v58, v199                              // 00000000894C: 0B8F8F3A
	s_waitcnt lgkmcnt(0)                                       // 000000008950: BF8CC07F
	v_max3_f32 v62, v80, v81, v62                              // 000000008954: D1D3003E 04FAA350
	v_max3_f32 v62, v82, v83, v62                              // 00000000895C: D1D3003E 04FAA752
	v_max3_f32 v62, v84, v85, v62                              // 000000008964: D1D3003E 04FAAB54
	v_max3_f32 v62, v86, v87, v62                              // 00000000896C: D1D3003E 04FAAF56
	v_max3_f32 v62, v88, v89, v62                              // 000000008974: D1D3003E 04FAB358
	v_max3_f32 v62, v90, v91, v62                              // 00000000897C: D1D3003E 04FAB75A
	v_max3_f32 v62, v92, v93, v62                              // 000000008984: D1D3003E 04FABB5C
	v_max3_f32 v62, v94, v95, v62                              // 00000000898C: D1D3003E 04FABF5E
	v_mov_b32_e32 v41, 0xff800000                              // 000000008994: 7E5202FF FF800000
	v_cmp_eq_u32_e64 s[40:41], v41, v14                        // 00000000899C: D0CA0028 00021D29
	s_nop 1                                                    // 0000000089A4: BF800001
	v_max_f32_e32 v18, v62, v14                                // 0000000089A8: 16241D3E
	v_mul_f32_e32 v67, s64, v18                                // 0000000089AC: 0A862440
	v_fma_f32 v128, v128, s64, -v67                            // 0000000089B0: D1CB0080 850C8180
	v_fma_f32 v129, v129, s64, -v67                            // 0000000089B8: D1CB0081 850C8181
	v_fma_f32 v130, v130, s64, -v67                            // 0000000089C0: D1CB0082 850C8182
	v_fma_f32 v131, v131, s64, -v67                            // 0000000089C8: D1CB0083 850C8183
	v_fma_f32 v132, v132, s64, -v67                            // 0000000089D0: D1CB0084 850C8184
	v_fma_f32 v133, v133, s64, -v67                            // 0000000089D8: D1CB0085 850C8185
	v_fma_f32 v134, v134, s64, -v67                            // 0000000089E0: D1CB0086 850C8186
	v_fma_f32 v135, v135, s64, -v67                            // 0000000089E8: D1CB0087 850C8187
	v_fma_f32 v136, v136, s64, -v67                            // 0000000089F0: D1CB0088 850C8188
	v_fma_f32 v137, v137, s64, -v67                            // 0000000089F8: D1CB0089 850C8189
	v_fma_f32 v138, v138, s64, -v67                            // 000000008A00: D1CB008A 850C818A
	v_fma_f32 v139, v139, s64, -v67                            // 000000008A08: D1CB008B 850C818B
	v_fma_f32 v140, v140, s64, -v67                            // 000000008A10: D1CB008C 850C818C
	v_fma_f32 v141, v141, s64, -v67                            // 000000008A18: D1CB008D 850C818D
	v_fma_f32 v142, v142, s64, -v67                            // 000000008A20: D1CB008E 850C818E
	v_fma_f32 v143, v143, s64, -v67                            // 000000008A28: D1CB008F 850C818F
	v_exp_f32_e32 v128, v128                                   // 000000008A30: 7F004180
	v_exp_f32_e32 v129, v129                                   // 000000008A34: 7F024181
	v_exp_f32_e32 v130, v130                                   // 000000008A38: 7F044182
	v_exp_f32_e32 v131, v131                                   // 000000008A3C: 7F064183
	v_exp_f32_e32 v132, v132                                   // 000000008A40: 7F084184
	v_exp_f32_e32 v133, v133                                   // 000000008A44: 7F0A4185
	v_exp_f32_e32 v134, v134                                   // 000000008A48: 7F0C4186
	v_exp_f32_e32 v135, v135                                   // 000000008A4C: 7F0E4187
	v_exp_f32_e32 v136, v136                                   // 000000008A50: 7F104188
	v_exp_f32_e32 v137, v137                                   // 000000008A54: 7F124189
	v_exp_f32_e32 v138, v138                                   // 000000008A58: 7F14418A
	v_exp_f32_e32 v139, v139                                   // 000000008A5C: 7F16418B
	v_exp_f32_e32 v140, v140                                   // 000000008A60: 7F18418C
	v_exp_f32_e32 v141, v141                                   // 000000008A64: 7F1A418D
	v_exp_f32_e32 v142, v142                                   // 000000008A68: 7F1C418E
	v_exp_f32_e32 v143, v143                                   // 000000008A6C: 7F1E418F
	v_mul_f32_dpp v240, v252, v128 quad_perm:[0,0,0,0] row_mask:0xf bank_mask:0xf// 000000008A70: 0BE100FA FF0000FC
	v_mul_f32_dpp v241, v252, v129 quad_perm:[1,1,1,1] row_mask:0xf bank_mask:0xf// 000000008A78: 0BE302FA FF0055FC
	v_mul_f32_dpp v242, v252, v130 quad_perm:[2,2,2,2] row_mask:0xf bank_mask:0xf// 000000008A80: 0BE504FA FF00AAFC
	v_mul_f32_dpp v243, v252, v131 quad_perm:[3,3,3,3] row_mask:0xf bank_mask:0xf// 000000008A88: 0BE706FA FF00FFFC
	v_mul_f32_dpp v244, v253, v132 quad_perm:[0,0,0,0] row_mask:0xf bank_mask:0xf// 000000008A90: 0BE908FA FF0000FD
	v_mul_f32_dpp v245, v253, v133 quad_perm:[1,1,1,1] row_mask:0xf bank_mask:0xf// 000000008A98: 0BEB0AFA FF0055FD
	v_mul_f32_dpp v246, v253, v134 quad_perm:[2,2,2,2] row_mask:0xf bank_mask:0xf// 000000008AA0: 0BED0CFA FF00AAFD
	v_mul_f32_dpp v247, v253, v135 quad_perm:[3,3,3,3] row_mask:0xf bank_mask:0xf// 000000008AA8: 0BEF0EFA FF00FFFD
	v_mul_f32_dpp v248, v254, v136 quad_perm:[0,0,0,0] row_mask:0xf bank_mask:0xf// 000000008AB0: 0BF110FA FF0000FE
	v_mul_f32_dpp v249, v254, v137 quad_perm:[1,1,1,1] row_mask:0xf bank_mask:0xf// 000000008AB8: 0BF312FA FF0055FE
	v_mul_f32_dpp v250, v254, v138 quad_perm:[2,2,2,2] row_mask:0xf bank_mask:0xf// 000000008AC0: 0BF514FA FF00AAFE
	v_mul_f32_dpp v251, v254, v139 quad_perm:[3,3,3,3] row_mask:0xf bank_mask:0xf// 000000008AC8: 0BF716FA FF00FFFE
	v_mul_f32_dpp v252, v255, v140 quad_perm:[0,0,0,0] row_mask:0xf bank_mask:0xf// 000000008AD0: 0BF918FA FF0000FF
	v_mul_f32_dpp v253, v255, v141 quad_perm:[1,1,1,1] row_mask:0xf bank_mask:0xf// 000000008AD8: 0BFB1AFA FF0055FF
	v_mul_f32_dpp v254, v255, v142 quad_perm:[2,2,2,2] row_mask:0xf bank_mask:0xf// 000000008AE0: 0BFD1CFA FF00AAFF
	v_mul_f32_dpp v255, v255, v143 quad_perm:[3,3,3,3] row_mask:0xf bank_mask:0xf// 000000008AE8: 0BFF1EFA FF00FFFF
	v_mov_b32_e32 v62, 0x358637bd                              // 000000008AF0: 7E7C02FF 358637BD
	v_max3_f32 v62, |v240|, |v241|, v62                        // 000000008AF8: D1D3033E 04FBE3F0
	v_max3_f32 v62, |v242|, |v243|, v62                        // 000000008B00: D1D3033E 04FBE7F2
	v_max3_f32 v62, |v244|, |v245|, v62                        // 000000008B08: D1D3033E 04FBEBF4
	v_max3_f32 v62, |v246|, |v247|, v62                        // 000000008B10: D1D3033E 04FBEFF6
	v_max3_f32 v62, |v248|, |v249|, v62                        // 000000008B18: D1D3033E 04FBF3F8
	v_max3_f32 v62, |v250|, |v251|, v62                        // 000000008B20: D1D3033E 04FBF7FA
	v_max3_f32 v62, |v252|, |v253|, v62                        // 000000008B28: D1D3033E 04FBFBFC
	v_max3_f32 v62, |v254|, |v255|, v62                        // 000000008B30: D1D3033E 04FBFFFE
	ds_write_b32 v11, v62 offset:20992                         // 000000008B38: D81A5200 00003E0B
	v_sub_f32_e32 v63, v14, v18                                // 000000008B40: 047E250E
	v_cndmask_b32_e64 v63, v63, 0, s[40:41]                    // 000000008B44: D100003F 00A1013F
	v_mov_b32_e32 v14, v18                                     // 000000008B4C: 7E1C0312
	v_mul_f32_e32 v63, s64, v63                                // 000000008B50: 0A7E7E40
	v_exp_f32_e32 v63, v63                                     // 000000008B54: 7E7E413F
	s_waitcnt lgkmcnt(0)                                       // 000000008B58: BF8CC07F
	s_barrier                                                  // 000000008B5C: BF8A0000
	ds_read_b32 v80, v10 offset:20992                          // 000000008B60: D86C5200 5000000A
	ds_read_b32 v81, v10 offset:21056                          // 000000008B68: D86C5240 5100000A
	ds_read_b32 v82, v10 offset:21120                          // 000000008B70: D86C5280 5200000A
	ds_read_b32 v83, v10 offset:21184                          // 000000008B78: D86C52C0 5300000A
	ds_read_b32 v84, v10 offset:21248                          // 000000008B80: D86C5300 5400000A
	ds_read_b32 v85, v10 offset:21312                          // 000000008B88: D86C5340 5500000A
	ds_read_b32 v86, v10 offset:21376                          // 000000008B90: D86C5380 5600000A
	ds_read_b32 v87, v10 offset:21440                          // 000000008B98: D86C53C0 5700000A
	ds_read_b32 v88, v10 offset:21504                          // 000000008BA0: D86C5400 5800000A
	ds_read_b32 v89, v10 offset:21568                          // 000000008BA8: D86C5440 5900000A
	ds_read_b32 v90, v10 offset:21632                          // 000000008BB0: D86C5480 5A00000A
	ds_read_b32 v91, v10 offset:21696                          // 000000008BB8: D86C54C0 5B00000A
	ds_read_b32 v92, v10 offset:21760                          // 000000008BC0: D86C5500 5C00000A
	ds_read_b32 v93, v10 offset:21824                          // 000000008BC8: D86C5540 5D00000A
	ds_read_b32 v94, v10 offset:21888                          // 000000008BD0: D86C5580 5E00000A
	ds_read_b32 v95, v10 offset:21952                          // 000000008BD8: D86C55C0 5F00000A
	v_mul_f32_e32 v47, v63, v47                                // 000000008BE0: 0A5E5F3F
	v_mov_b32_e32 v18, v128                                    // 000000008BE4: 7E240380
	v_add_f32_e32 v18, v129, v18                               // 000000008BE8: 02242581
	v_add_f32_e32 v18, v130, v18                               // 000000008BEC: 02242582
	v_add_f32_e32 v18, v131, v18                               // 000000008BF0: 02242583
	v_add_f32_e32 v18, v132, v18                               // 000000008BF4: 02242584
	v_add_f32_e32 v18, v133, v18                               // 000000008BF8: 02242585
	v_add_f32_e32 v18, v134, v18                               // 000000008BFC: 02242586
	v_add_f32_e32 v18, v135, v18                               // 000000008C00: 02242587
	v_add_f32_e32 v18, v136, v18                               // 000000008C04: 02242588
	v_add_f32_e32 v18, v137, v18                               // 000000008C08: 02242589
	v_add_f32_e32 v18, v138, v18                               // 000000008C0C: 0224258A
	v_add_f32_e32 v18, v139, v18                               // 000000008C10: 0224258B
	v_add_f32_e32 v18, v140, v18                               // 000000008C14: 0224258C
	v_add_f32_e32 v18, v141, v18                               // 000000008C18: 0224258D
	v_add_f32_e32 v18, v142, v18                               // 000000008C1C: 0224258E
	v_add_f32_e32 v18, v143, v18                               // 000000008C20: 0224258F
	v_add_f32_e32 v47, v18, v47                                // 000000008C24: 025E5F12
	s_waitcnt lgkmcnt(0)                                       // 000000008C28: BF8CC07F
	v_max3_f32 v62, |v80|, |v81|, v62                          // 000000008C2C: D1D3033E 04FAA350
	v_max3_f32 v62, |v82|, |v83|, v62                          // 000000008C34: D1D3033E 04FAA752
	v_max3_f32 v62, |v84|, |v85|, v62                          // 000000008C3C: D1D3033E 04FAAB54
	v_max3_f32 v62, |v86|, |v87|, v62                          // 000000008C44: D1D3033E 04FAAF56
	v_max3_f32 v62, |v88|, |v89|, v62                          // 000000008C4C: D1D3033E 04FAB358
	v_max3_f32 v62, |v90|, |v91|, v62                          // 000000008C54: D1D3033E 04FAB75A
	v_max3_f32 v62, |v92|, |v93|, v62                          // 000000008C5C: D1D3033E 04FABB5C
	v_max3_f32 v62, |v94|, |v95|, v62                          // 000000008C64: D1D3033E 04FABF5E
	s_nop 2                                                    // 000000008C6C: BF800002
	v_rcp_f32_e32 v62, v62                                     // 000000008C70: 7E7C453E
	s_nop 1                                                    // 000000008C74: BF800001
	v_mul_f32_e32 v62, 0x43700000, v62                         // 000000008C78: 0A7C7CFF 43700000
	v_mul_f32_e32 v128, v62, v240                              // 000000008C80: 0B01E13E
	v_mul_f32_e32 v129, v62, v241                              // 000000008C84: 0B03E33E
	v_mul_f32_e32 v130, v62, v242                              // 000000008C88: 0B05E53E
	v_mul_f32_e32 v131, v62, v243                              // 000000008C8C: 0B07E73E
	v_mul_f32_e32 v132, v62, v244                              // 000000008C90: 0B09E93E
	v_mul_f32_e32 v133, v62, v245                              // 000000008C94: 0B0BEB3E
	v_mul_f32_e32 v134, v62, v246                              // 000000008C98: 0B0DED3E
	v_mul_f32_e32 v135, v62, v247                              // 000000008C9C: 0B0FEF3E
	v_mul_f32_e32 v136, v62, v248                              // 000000008CA0: 0B11F13E
	v_mul_f32_e32 v137, v62, v249                              // 000000008CA4: 0B13F33E
	v_mul_f32_e32 v138, v62, v250                              // 000000008CA8: 0B15F53E
	v_mul_f32_e32 v139, v62, v251                              // 000000008CAC: 0B17F73E
	v_mul_f32_e32 v140, v62, v252                              // 000000008CB0: 0B19F93E
	v_mul_f32_e32 v141, v62, v253                              // 000000008CB4: 0B1BFB3E
	v_mul_f32_e32 v142, v62, v254                              // 000000008CB8: 0B1DFD3E
	v_mul_f32_e32 v143, v62, v255                              // 000000008CBC: 0B1FFF3E
	v_cvt_pk_fp8_f32 v128, v128, v129                          // 000000008CC0: D2A20080 00030380
	v_cvt_pk_fp8_f32 v128, v130, v131 op_sel:[0,0,1]           // 000000008CC8: D2A24080 00030782
	v_cvt_pk_fp8_f32 v129, v132, v133                          // 000000008CD0: D2A20081 00030B84
	v_cvt_pk_fp8_f32 v129, v134, v135 op_sel:[0,0,1]           // 000000008CD8: D2A24081 00030F86
	v_cvt_pk_fp8_f32 v130, v136, v137                          // 000000008CE0: D2A20082 00031388
	v_cvt_pk_fp8_f32 v130, v138, v139 op_sel:[0,0,1]           // 000000008CE8: D2A24082 0003178A
	v_cvt_pk_fp8_f32 v131, v140, v141                          // 000000008CF0: D2A20083 00031B8C
	v_cvt_pk_fp8_f32 v131, v142, v143 op_sel:[0,0,1]           // 000000008CF8: D2A24083 00031F8E
	ds_write_b32 v13, v128 offset:25088                        // 000000008D00: D81A6200 0000800D
	ds_write_b32 v13, v129 offset:26112                        // 000000008D08: D81A6600 0000810D
	ds_write_b32 v13, v130 offset:27136                        // 000000008D10: D81A6A00 0000820D
	ds_write_b32 v13, v131 offset:28160                        // 000000008D18: D81A6E00 0000830D
	v_add_f32_e32 v224, v224, v192                             // 000000008D20: 03C181E0
	v_add_f32_e32 v225, v225, v193                             // 000000008D24: 03C383E1
	v_add_f32_e32 v226, v226, v194                             // 000000008D28: 03C585E2
	v_add_f32_e32 v227, v227, v195                             // 000000008D2C: 03C787E3
	v_add_f32_e32 v228, v228, v196                             // 000000008D30: 03C989E4
	v_add_f32_e32 v229, v229, v197                             // 000000008D34: 03CB8BE5
	v_add_f32_e32 v230, v230, v198                             // 000000008D38: 03CD8DE6
	v_add_f32_e32 v231, v231, v199                             // 000000008D3C: 03CF8FE7
	v_rcp_f32_e32 v58, v62                                     // 000000008D40: 7E74453E
	s_waitcnt lgkmcnt(0)                                       // 000000008D44: BF8CC07F
	s_barrier                                                  // 000000008D48: BF8A0000
	ds_read_b64 v[128:129], v12 offset:25088                   // 000000008D4C: D8EC6200 8000000C
	ds_read_b64 v[130:131], v12 offset:25216                   // 000000008D54: D8EC6280 8200000C
	ds_read_b64 v[132:133], v12 offset:26112                   // 000000008D5C: D8EC6600 8400000C
	ds_read_b64 v[134:135], v12 offset:26240                   // 000000008D64: D8EC6680 8600000C
	ds_read_b64 v[136:137], v12 offset:27136                   // 000000008D6C: D8EC6A00 8800000C
	ds_read_b64 v[138:139], v12 offset:27264                   // 000000008D74: D8EC6A80 8A00000C
	ds_read_b64 v[140:141], v12 offset:28160                   // 000000008D7C: D8EC6E00 8C00000C
	ds_read_b64 v[142:143], v12 offset:28288                   // 000000008D84: D8EC6E80 8E00000C
	s_waitcnt vmcnt(0)                                         // 000000008D8C: BF8C0F70
	s_barrier                                                  // 000000008D90: BF8A0000
	s_waitcnt lgkmcnt(7)                                       // 000000008D94: BF8CC77F
	v_mfma_f32_16x16x32_fp8_fp8 v[192:195], a[64:65], v[128:129], 0// 000000008D98: D3F300C0 0A030140
	s_waitcnt lgkmcnt(6)                                       // 000000008DA0: BF8CC67F
	v_mfma_f32_16x16x32_fp8_fp8 v[192:195], a[66:67], v[130:131], v[192:195]// 000000008DA4: D3F300C0 0F030542
	s_waitcnt lgkmcnt(5)                                       // 000000008DAC: BF8CC57F
	v_mfma_f32_16x16x32_fp8_fp8 v[192:195], a[68:69], v[132:133], v[192:195]// 000000008DB0: D3F300C0 0F030944
	s_waitcnt lgkmcnt(4)                                       // 000000008DB8: BF8CC47F
	v_mfma_f32_16x16x32_fp8_fp8 v[192:195], a[70:71], v[134:135], v[192:195]// 000000008DBC: D3F300C0 0F030D46
	s_waitcnt lgkmcnt(3)                                       // 000000008DC4: BF8CC37F
	v_mfma_f32_16x16x32_fp8_fp8 v[192:195], a[72:73], v[136:137], v[192:195]// 000000008DC8: D3F300C0 0F031148
	s_waitcnt lgkmcnt(2)                                       // 000000008DD0: BF8CC27F
	v_mfma_f32_16x16x32_fp8_fp8 v[192:195], a[74:75], v[138:139], v[192:195]// 000000008DD4: D3F300C0 0F03154A
	s_waitcnt lgkmcnt(1)                                       // 000000008DDC: BF8CC17F
	v_mfma_f32_16x16x32_fp8_fp8 v[192:195], a[76:77], v[140:141], v[192:195]// 000000008DE0: D3F300C0 0F03194C
	s_waitcnt lgkmcnt(0)                                       // 000000008DE8: BF8CC07F
	v_mfma_f32_16x16x32_fp8_fp8 v[192:195], a[78:79], v[142:143], v[192:195]// 000000008DEC: D3F300C0 0F031D4E
	v_mfma_f32_16x16x32_fp8_fp8 v[196:199], a[80:81], v[128:129], 0// 000000008DF4: D3F300C4 0A030150
	v_mfma_f32_16x16x32_fp8_fp8 v[196:199], a[82:83], v[130:131], v[196:199]// 000000008DFC: D3F300C4 0F130552
	v_mfma_f32_16x16x32_fp8_fp8 v[196:199], a[84:85], v[132:133], v[196:199]// 000000008E04: D3F300C4 0F130954
	v_mfma_f32_16x16x32_fp8_fp8 v[196:199], a[86:87], v[134:135], v[196:199]// 000000008E0C: D3F300C4 0F130D56
	v_mfma_f32_16x16x32_fp8_fp8 v[196:199], a[88:89], v[136:137], v[196:199]// 000000008E14: D3F300C4 0F131158
	v_mfma_f32_16x16x32_fp8_fp8 v[196:199], a[90:91], v[138:139], v[196:199]// 000000008E1C: D3F300C4 0F13155A
	v_mfma_f32_16x16x32_fp8_fp8 v[196:199], a[92:93], v[140:141], v[196:199]// 000000008E24: D3F300C4 0F13195C
	v_mfma_f32_16x16x32_fp8_fp8 v[196:199], a[94:95], v[142:143], v[196:199]// 000000008E2C: D3F300C4 0F131D5E
	s_nop 4                                                    // 000000008E34: BF800004
	s_branch label_1D8D                                        // 000000008E38: BF82027E

0000000000008e3c <label_1B0F>:
	s_waitcnt vmcnt(8) lgkmcnt(0)                              // 000000008E3C: BF8C0078
	s_barrier                                                  // 000000008E40: BF8A0000
	v_mfma_f32_16x16x32_fp8_fp8 v[128:131], a[32:33], v[96:97], 0// 000000008E44: D3F30080 0A02C120
	v_mfma_f32_16x16x32_fp8_fp8 v[128:131], a[34:35], v[98:99], v[128:131]// 000000008E4C: D3F30080 0E02C522
	v_mfma_f32_16x16x32_fp8_fp8 v[128:131], a[36:37], v[100:101], v[128:131]// 000000008E54: D3F30080 0E02C924
	v_mfma_f32_16x16x32_fp8_fp8 v[128:131], a[38:39], v[102:103], v[128:131]// 000000008E5C: D3F30080 0E02CD26
	v_mfma_f32_16x16x32_fp8_fp8 v[132:135], a[40:41], v[96:97], 0// 000000008E64: D3F30084 0A02C128
	v_mfma_f32_16x16x32_fp8_fp8 v[132:135], a[42:43], v[98:99], v[132:135]// 000000008E6C: D3F30084 0E12C52A
	v_mfma_f32_16x16x32_fp8_fp8 v[132:135], a[44:45], v[100:101], v[132:135]// 000000008E74: D3F30084 0E12C92C
	v_mfma_f32_16x16x32_fp8_fp8 v[132:135], a[46:47], v[102:103], v[132:135]// 000000008E7C: D3F30084 0E12CD2E
	v_mfma_f32_16x16x32_fp8_fp8 v[136:139], a[48:49], v[96:97], 0// 000000008E84: D3F30088 0A02C130
	v_mfma_f32_16x16x32_fp8_fp8 v[136:139], a[50:51], v[98:99], v[136:139]// 000000008E8C: D3F30088 0E22C532
	v_mfma_f32_16x16x32_fp8_fp8 v[136:139], a[52:53], v[100:101], v[136:139]// 000000008E94: D3F30088 0E22C934
	v_mfma_f32_16x16x32_fp8_fp8 v[136:139], a[54:55], v[102:103], v[136:139]// 000000008E9C: D3F30088 0E22CD36
	v_mfma_f32_16x16x32_fp8_fp8 v[140:143], a[56:57], v[96:97], 0// 000000008EA4: D3F3008C 0A02C138
	v_mfma_f32_16x16x32_fp8_fp8 v[140:143], a[58:59], v[98:99], v[140:143]// 000000008EAC: D3F3008C 0E32C53A
	v_mfma_f32_16x16x32_fp8_fp8 v[140:143], a[60:61], v[100:101], v[140:143]// 000000008EB4: D3F3008C 0E32C93C
	v_mfma_f32_16x16x32_fp8_fp8 v[140:143], a[62:63], v[102:103], v[140:143]// 000000008EBC: D3F3008C 0E32CD3E
	v_mov_b32_dpp v41, v53 row_shr:4 row_mask:0xf bank_mask:0xf// 000000008EC4: 7E5202FA FF011435
	v_mov_b32_dpp v42, v53 row_shl:4 row_mask:0xf bank_mask:0xf// 000000008ECC: 7E5402FA FF010435
	v_cndmask_b32_e64 v248, v53, v41, s[44:45]                 // 000000008ED4: D10000F8 00B25335
	v_cndmask_b32_e64 v249, v42, v53, s[44:45]                 // 000000008EDC: D10000F9 00B26B2A
	v_mov_b32_dpp v41, v248 row_shr:8 row_mask:0xf bank_mask:0xf// 000000008EE4: 7E5202FA FF0118F8
	v_mov_b32_dpp v42, v248 row_shl:8 row_mask:0xf bank_mask:0xf// 000000008EEC: 7E5402FA FF0108F8
	v_mov_b32_dpp v43, v249 row_shr:8 row_mask:0xf bank_mask:0xf// 000000008EF4: 7E5602FA FF0118F9
	v_mov_b32_dpp v44, v249 row_shl:8 row_mask:0xf bank_mask:0xf// 000000008EFC: 7E5802FA FF0108F9
	v_mov_b32_e32 v45, v248                                    // 000000008F04: 7E5A03F8
	v_mov_b32_e32 v46, v249                                    // 000000008F08: 7E5C03F9
	v_cndmask_b32_e64 v248, v45, v41, s[42:43]                 // 000000008F0C: D10000F8 00AA532D
	v_cndmask_b32_e64 v250, v45, v42, s[78:79]                 // 000000008F14: D10000FA 013A552D
	v_cndmask_b32_e64 v249, v46, v43, s[42:43]                 // 000000008F1C: D10000F9 00AA572E
	v_cndmask_b32_e64 v251, v46, v44, s[78:79]                 // 000000008F24: D10000FB 013A592E
	v_mov_b32_dpp v41, v73 row_shr:4 row_mask:0xf bank_mask:0xf// 000000008F2C: 7E5202FA FF011449
	v_mov_b32_dpp v42, v73 row_shl:4 row_mask:0xf bank_mask:0xf// 000000008F34: 7E5402FA FF010449
	v_cndmask_b32_e64 v252, v73, v41, s[44:45]                 // 000000008F3C: D10000FC 00B25349
	v_cndmask_b32_e64 v253, v42, v73, s[44:45]                 // 000000008F44: D10000FD 00B2932A
	v_mov_b32_dpp v41, v252 row_shr:8 row_mask:0xf bank_mask:0xf// 000000008F4C: 7E5202FA FF0118FC
	v_mov_b32_dpp v42, v252 row_shl:8 row_mask:0xf bank_mask:0xf// 000000008F54: 7E5402FA FF0108FC
	v_mov_b32_dpp v43, v253 row_shr:8 row_mask:0xf bank_mask:0xf// 000000008F5C: 7E5602FA FF0118FD
	v_mov_b32_dpp v44, v253 row_shl:8 row_mask:0xf bank_mask:0xf// 000000008F64: 7E5802FA FF0108FD
	v_mov_b32_e32 v45, v252                                    // 000000008F6C: 7E5A03FC
	v_mov_b32_e32 v46, v253                                    // 000000008F70: 7E5C03FD
	v_cndmask_b32_e64 v252, v45, v41, s[42:43]                 // 000000008F74: D10000FC 00AA532D
	v_cndmask_b32_e64 v254, v45, v42, s[78:79]                 // 000000008F7C: D10000FE 013A552D
	v_cndmask_b32_e64 v253, v46, v43, s[42:43]                 // 000000008F84: D10000FD 00AA572E
	v_cndmask_b32_e64 v255, v46, v44, s[78:79]                 // 000000008F8C: D10000FF 013A592E
	v_mul_f32_e32 v128, v54, v128                              // 000000008F94: 0B010136
	v_mul_f32_e32 v129, v54, v129                              // 000000008F98: 0B030336
	v_mul_f32_e32 v130, v54, v130                              // 000000008F9C: 0B050536
	v_mul_f32_e32 v131, v54, v131                              // 000000008FA0: 0B070736
	v_mul_f32_e32 v132, v54, v132                              // 000000008FA4: 0B090936
	v_mul_f32_e32 v133, v54, v133                              // 000000008FA8: 0B0B0B36
	v_mul_f32_e32 v134, v54, v134                              // 000000008FAC: 0B0D0D36
	v_mul_f32_e32 v135, v54, v135                              // 000000008FB0: 0B0F0F36
	v_mul_f32_e32 v136, v54, v136                              // 000000008FB4: 0B111136
	v_mul_f32_e32 v137, v54, v137                              // 000000008FB8: 0B131336
	v_mul_f32_e32 v138, v54, v138                              // 000000008FBC: 0B151536
	v_mul_f32_e32 v139, v54, v139                              // 000000008FC0: 0B171736
	v_mul_f32_e32 v140, v54, v140                              // 000000008FC4: 0B191936
	v_mul_f32_e32 v141, v54, v141                              // 000000008FC8: 0B1B1B36
	v_mul_f32_e32 v142, v54, v142                              // 000000008FCC: 0B1D1D36
	v_mul_f32_e32 v143, v54, v143                              // 000000008FD0: 0B1F1F36
	v_mul_f32_dpp v128, v248, v128 quad_perm:[0,0,0,0] row_mask:0xf bank_mask:0xf// 000000008FD4: 0B0100FA FF0000F8
	v_mul_f32_dpp v129, v248, v129 quad_perm:[1,1,1,1] row_mask:0xf bank_mask:0xf// 000000008FDC: 0B0302FA FF0055F8
	v_mul_f32_dpp v130, v248, v130 quad_perm:[2,2,2,2] row_mask:0xf bank_mask:0xf// 000000008FE4: 0B0504FA FF00AAF8
	v_mul_f32_dpp v131, v248, v131 quad_perm:[3,3,3,3] row_mask:0xf bank_mask:0xf// 000000008FEC: 0B0706FA FF00FFF8
	v_mul_f32_dpp v132, v249, v132 quad_perm:[0,0,0,0] row_mask:0xf bank_mask:0xf// 000000008FF4: 0B0908FA FF0000F9
	v_mul_f32_dpp v133, v249, v133 quad_perm:[1,1,1,1] row_mask:0xf bank_mask:0xf// 000000008FFC: 0B0B0AFA FF0055F9
	v_mul_f32_dpp v134, v249, v134 quad_perm:[2,2,2,2] row_mask:0xf bank_mask:0xf// 000000009004: 0B0D0CFA FF00AAF9
	v_mul_f32_dpp v135, v249, v135 quad_perm:[3,3,3,3] row_mask:0xf bank_mask:0xf// 00000000900C: 0B0F0EFA FF00FFF9
	v_mul_f32_dpp v136, v250, v136 quad_perm:[0,0,0,0] row_mask:0xf bank_mask:0xf// 000000009014: 0B1110FA FF0000FA
	v_mul_f32_dpp v137, v250, v137 quad_perm:[1,1,1,1] row_mask:0xf bank_mask:0xf// 00000000901C: 0B1312FA FF0055FA
	v_mul_f32_dpp v138, v250, v138 quad_perm:[2,2,2,2] row_mask:0xf bank_mask:0xf// 000000009024: 0B1514FA FF00AAFA
	v_mul_f32_dpp v139, v250, v139 quad_perm:[3,3,3,3] row_mask:0xf bank_mask:0xf// 00000000902C: 0B1716FA FF00FFFA
	v_mul_f32_dpp v140, v251, v140 quad_perm:[0,0,0,0] row_mask:0xf bank_mask:0xf// 000000009034: 0B1918FA FF0000FB
	v_mul_f32_dpp v141, v251, v141 quad_perm:[1,1,1,1] row_mask:0xf bank_mask:0xf// 00000000903C: 0B1B1AFA FF0055FB
	v_mul_f32_dpp v142, v251, v142 quad_perm:[2,2,2,2] row_mask:0xf bank_mask:0xf// 000000009044: 0B1D1CFA FF00AAFB
	v_mul_f32_dpp v143, v251, v143 quad_perm:[3,3,3,3] row_mask:0xf bank_mask:0xf// 00000000904C: 0B1F1EFA FF00FFFB
	s_and_b32 s60, s72, 0xff                                   // 000000009054: 863CFF48 000000FF
	v_mov_b32_e32 v42, s60                                     // 00000000905C: 7E54023C
	v_lshrrev_b32_e32 v240, 4, v0                              // 000000009060: 21E00084
	v_mul_i32_i24_e32 v240, 4, v240                            // 000000009064: 0DE1E084
	s_mul_i32 s60, s7, 16                                      // 000000009068: 923C9007
	v_add_u32_e32 v240, s60, v240                              // 00000000906C: 69E1E03C
	v_add_u32_e32 v241, 1, v240                                // 000000009070: 69E3E081
	v_add_u32_e32 v242, 2, v240                                // 000000009074: 69E5E082
	v_add_u32_e32 v243, 3, v240                                // 000000009078: 69E7E083
	v_mov_b32_e32 v41, 0xff800000                              // 00000000907C: 7E5202FF FF800000
	v_cmp_lt_u32_e64 s[40:41], v240, v42                       // 000000009084: D0C90028 000255F0
	v_add_u32_e32 v240, 64, v240                               // 00000000908C: 69E1E0C0
	s_nop 0                                                    // 000000009090: BF800000
	v_cndmask_b32_e64 v128, v41, v128, s[40:41]                // 000000009094: D1000080 00A30129
	v_cmp_lt_u32_e64 s[40:41], v241, v42                       // 00000000909C: D0C90028 000255F1
	v_add_u32_e32 v241, 64, v241                               // 0000000090A4: 69E3E2C0
	s_nop 0                                                    // 0000000090A8: BF800000
	v_cndmask_b32_e64 v129, v41, v129, s[40:41]                // 0000000090AC: D1000081 00A30329
	v_cmp_lt_u32_e64 s[40:41], v242, v42                       // 0000000090B4: D0C90028 000255F2
	v_add_u32_e32 v242, 64, v242                               // 0000000090BC: 69E5E4C0
	s_nop 0                                                    // 0000000090C0: BF800000
	v_cndmask_b32_e64 v130, v41, v130, s[40:41]                // 0000000090C4: D1000082 00A30529
	v_cmp_lt_u32_e64 s[40:41], v243, v42                       // 0000000090CC: D0C90028 000255F3
	v_add_u32_e32 v243, 64, v243                               // 0000000090D4: 69E7E6C0
	s_nop 0                                                    // 0000000090D8: BF800000
	v_cndmask_b32_e64 v131, v41, v131, s[40:41]                // 0000000090DC: D1000083 00A30729
	v_cmp_lt_u32_e64 s[40:41], v240, v42                       // 0000000090E4: D0C90028 000255F0
	v_add_u32_e32 v240, 64, v240                               // 0000000090EC: 69E1E0C0
	s_nop 0                                                    // 0000000090F0: BF800000
	v_cndmask_b32_e64 v132, v41, v132, s[40:41]                // 0000000090F4: D1000084 00A30929
	v_cmp_lt_u32_e64 s[40:41], v241, v42                       // 0000000090FC: D0C90028 000255F1
	v_add_u32_e32 v241, 64, v241                               // 000000009104: 69E3E2C0
	s_nop 0                                                    // 000000009108: BF800000
	v_cndmask_b32_e64 v133, v41, v133, s[40:41]                // 00000000910C: D1000085 00A30B29
	v_cmp_lt_u32_e64 s[40:41], v242, v42                       // 000000009114: D0C90028 000255F2
	v_add_u32_e32 v242, 64, v242                               // 00000000911C: 69E5E4C0
	s_nop 0                                                    // 000000009120: BF800000
	v_cndmask_b32_e64 v134, v41, v134, s[40:41]                // 000000009124: D1000086 00A30D29
	v_cmp_lt_u32_e64 s[40:41], v243, v42                       // 00000000912C: D0C90028 000255F3
	v_add_u32_e32 v243, 64, v243                               // 000000009134: 69E7E6C0
	s_nop 0                                                    // 000000009138: BF800000
	v_cndmask_b32_e64 v135, v41, v135, s[40:41]                // 00000000913C: D1000087 00A30F29
	v_cmp_lt_u32_e64 s[40:41], v240, v42                       // 000000009144: D0C90028 000255F0
	v_add_u32_e32 v240, 64, v240                               // 00000000914C: 69E1E0C0
	s_nop 0                                                    // 000000009150: BF800000
	v_cndmask_b32_e64 v136, v41, v136, s[40:41]                // 000000009154: D1000088 00A31129
	v_cmp_lt_u32_e64 s[40:41], v241, v42                       // 00000000915C: D0C90028 000255F1
	v_add_u32_e32 v241, 64, v241                               // 000000009164: 69E3E2C0
	s_nop 0                                                    // 000000009168: BF800000
	v_cndmask_b32_e64 v137, v41, v137, s[40:41]                // 00000000916C: D1000089 00A31329
	v_cmp_lt_u32_e64 s[40:41], v242, v42                       // 000000009174: D0C90028 000255F2
	v_add_u32_e32 v242, 64, v242                               // 00000000917C: 69E5E4C0
	s_nop 0                                                    // 000000009180: BF800000
	v_cndmask_b32_e64 v138, v41, v138, s[40:41]                // 000000009184: D100008A 00A31529
	v_cmp_lt_u32_e64 s[40:41], v243, v42                       // 00000000918C: D0C90028 000255F3
	v_add_u32_e32 v243, 64, v243                               // 000000009194: 69E7E6C0
	s_nop 0                                                    // 000000009198: BF800000
	v_cndmask_b32_e64 v139, v41, v139, s[40:41]                // 00000000919C: D100008B 00A31729
	v_cmp_lt_u32_e64 s[40:41], v240, v42                       // 0000000091A4: D0C90028 000255F0
	v_add_u32_e32 v240, 64, v240                               // 0000000091AC: 69E1E0C0
	s_nop 0                                                    // 0000000091B0: BF800000
	v_cndmask_b32_e64 v140, v41, v140, s[40:41]                // 0000000091B4: D100008C 00A31929
	v_cmp_lt_u32_e64 s[40:41], v241, v42                       // 0000000091BC: D0C90028 000255F1
	v_add_u32_e32 v241, 64, v241                               // 0000000091C4: 69E3E2C0
	s_nop 0                                                    // 0000000091C8: BF800000
	v_cndmask_b32_e64 v141, v41, v141, s[40:41]                // 0000000091CC: D100008D 00A31B29
	v_cmp_lt_u32_e64 s[40:41], v242, v42                       // 0000000091D4: D0C90028 000255F2
	v_add_u32_e32 v242, 64, v242                               // 0000000091DC: 69E5E4C0
	s_nop 0                                                    // 0000000091E0: BF800000
	v_cndmask_b32_e64 v142, v41, v142, s[40:41]                // 0000000091E4: D100008E 00A31D29
	v_cmp_lt_u32_e64 s[40:41], v243, v42                       // 0000000091EC: D0C90028 000255F3
	v_add_u32_e32 v243, 64, v243                               // 0000000091F4: 69E7E6C0
	s_nop 0                                                    // 0000000091F8: BF800000
	v_cndmask_b32_e64 v143, v41, v143, s[40:41]                // 0000000091FC: D100008F 00A31F29
	v_mov_b32_e32 v62, v128                                    // 000000009204: 7E7C0380
	v_max3_f32 v62, v128, v129, v62                            // 000000009208: D1D3003E 04FB0380
	v_max3_f32 v62, v130, v131, v62                            // 000000009210: D1D3003E 04FB0782
	v_max3_f32 v62, v132, v133, v62                            // 000000009218: D1D3003E 04FB0B84
	v_max3_f32 v62, v134, v135, v62                            // 000000009220: D1D3003E 04FB0F86
	v_max3_f32 v62, v136, v137, v62                            // 000000009228: D1D3003E 04FB1388
	v_max3_f32 v62, v138, v139, v62                            // 000000009230: D1D3003E 04FB178A
	v_max3_f32 v62, v140, v141, v62                            // 000000009238: D1D3003E 04FB1B8C
	v_max3_f32 v62, v142, v143, v62                            // 000000009240: D1D3003E 04FB1F8E
	ds_write_b32 v11, v62 offset:16896                         // 000000009248: D81A4200 00003E0B
	v_mul_u32_u24_dpp v41, v19, v68 row_newbcast:1 row_mask:0xf bank_mask:0xf// 000000009250: 105288FA FF015113
	v_mul_u32_u24_dpp v42, v19, v68 row_newbcast:5 row_mask:0xf bank_mask:0xf// 000000009258: 105488FA FF015513
	v_mul_u32_u24_dpp v43, v19, v68 row_newbcast:9 row_mask:0xf bank_mask:0xf// 000000009260: 105688FA FF015913
	v_mul_u32_u24_dpp v44, v19, v68 row_newbcast:13 row_mask:0xf bank_mask:0xf// 000000009268: 105888FA FF015D13
	v_add_u32_e32 v33, v41, v7                                 // 000000009270: 68420F29
	v_add_u32_e32 v34, v42, v7                                 // 000000009274: 68440F2A
	v_add_u32_e32 v35, v43, v7                                 // 000000009278: 68460F2B
	v_add_u32_e32 v36, v44, v7                                 // 00000000927C: 68480F2C
	v_mul_f32_e32 v224, v63, v224                              // 000000009280: 0BC1C13F
	v_mul_f32_e32 v225, v63, v225                              // 000000009284: 0BC3C33F
	v_mul_f32_e32 v226, v63, v226                              // 000000009288: 0BC5C53F
	v_mul_f32_e32 v227, v63, v227                              // 00000000928C: 0BC7C73F
	v_mul_f32_e32 v228, v63, v228                              // 000000009290: 0BC9C93F
	v_mul_f32_e32 v229, v63, v229                              // 000000009294: 0BCBCB3F
	v_mul_f32_e32 v230, v63, v230                              // 000000009298: 0BCDCD3F
	v_mul_f32_e32 v231, v63, v231                              // 00000000929C: 0BCFCF3F
	s_waitcnt lgkmcnt(0)                                       // 0000000092A0: BF8CC07F
	s_barrier                                                  // 0000000092A4: BF8A0000
	ds_read_b32 v80, v10 offset:16896                          // 0000000092A8: D86C4200 5000000A
	ds_read_b32 v81, v10 offset:16960                          // 0000000092B0: D86C4240 5100000A
	ds_read_b32 v82, v10 offset:17024                          // 0000000092B8: D86C4280 5200000A
	ds_read_b32 v83, v10 offset:17088                          // 0000000092C0: D86C42C0 5300000A
	ds_read_b32 v84, v10 offset:17152                          // 0000000092C8: D86C4300 5400000A
	ds_read_b32 v85, v10 offset:17216                          // 0000000092D0: D86C4340 5500000A
	ds_read_b32 v86, v10 offset:17280                          // 0000000092D8: D86C4380 5600000A
	ds_read_b32 v87, v10 offset:17344                          // 0000000092E0: D86C43C0 5700000A
	ds_read_b32 v88, v10 offset:17408                          // 0000000092E8: D86C4400 5800000A
	ds_read_b32 v89, v10 offset:17472                          // 0000000092F0: D86C4440 5900000A
	ds_read_b32 v90, v10 offset:17536                          // 0000000092F8: D86C4480 5A00000A
	ds_read_b32 v91, v10 offset:17600                          // 000000009300: D86C44C0 5B00000A
	ds_read_b32 v92, v10 offset:17664                          // 000000009308: D86C4500 5C00000A
	ds_read_b32 v93, v10 offset:17728                          // 000000009310: D86C4540 5D00000A
	ds_read_b32 v94, v10 offset:17792                          // 000000009318: D86C4580 5E00000A
	ds_read_b32 v95, v10 offset:17856                          // 000000009320: D86C45C0 5F00000A
	v_mul_f32_e32 v192, v58, v192                              // 000000009328: 0B81813A
	v_mul_f32_e32 v193, v58, v193                              // 00000000932C: 0B83833A
	v_mul_f32_e32 v194, v58, v194                              // 000000009330: 0B85853A
	v_mul_f32_e32 v195, v58, v195                              // 000000009334: 0B87873A
	v_mul_f32_e32 v196, v58, v196                              // 000000009338: 0B89893A
	v_mul_f32_e32 v197, v58, v197                              // 00000000933C: 0B8B8B3A
	v_mul_f32_e32 v198, v58, v198                              // 000000009340: 0B8D8D3A
	v_mul_f32_e32 v199, v58, v199                              // 000000009344: 0B8F8F3A
	s_waitcnt lgkmcnt(0)                                       // 000000009348: BF8CC07F
	v_max3_f32 v62, v80, v81, v62                              // 00000000934C: D1D3003E 04FAA350
	v_max3_f32 v62, v82, v83, v62                              // 000000009354: D1D3003E 04FAA752
	v_max3_f32 v62, v84, v85, v62                              // 00000000935C: D1D3003E 04FAAB54
	v_max3_f32 v62, v86, v87, v62                              // 000000009364: D1D3003E 04FAAF56
	v_max3_f32 v62, v88, v89, v62                              // 00000000936C: D1D3003E 04FAB358
	v_max3_f32 v62, v90, v91, v62                              // 000000009374: D1D3003E 04FAB75A
	v_max3_f32 v62, v92, v93, v62                              // 00000000937C: D1D3003E 04FABB5C
	v_max3_f32 v62, v94, v95, v62                              // 000000009384: D1D3003E 04FABF5E
	v_mov_b32_e32 v41, 0xff800000                              // 00000000938C: 7E5202FF FF800000
	v_cmp_eq_u32_e64 s[40:41], v41, v14                        // 000000009394: D0CA0028 00021D29
	s_nop 1                                                    // 00000000939C: BF800001
	v_max_f32_e32 v18, v62, v14                                // 0000000093A0: 16241D3E
	v_mul_f32_e32 v67, s64, v18                                // 0000000093A4: 0A862440
	v_fma_f32 v128, v128, s64, -v67                            // 0000000093A8: D1CB0080 850C8180
	v_fma_f32 v129, v129, s64, -v67                            // 0000000093B0: D1CB0081 850C8181
	v_fma_f32 v130, v130, s64, -v67                            // 0000000093B8: D1CB0082 850C8182
	v_fma_f32 v131, v131, s64, -v67                            // 0000000093C0: D1CB0083 850C8183
	v_fma_f32 v132, v132, s64, -v67                            // 0000000093C8: D1CB0084 850C8184
	v_fma_f32 v133, v133, s64, -v67                            // 0000000093D0: D1CB0085 850C8185
	v_fma_f32 v134, v134, s64, -v67                            // 0000000093D8: D1CB0086 850C8186
	v_fma_f32 v135, v135, s64, -v67                            // 0000000093E0: D1CB0087 850C8187
	v_fma_f32 v136, v136, s64, -v67                            // 0000000093E8: D1CB0088 850C8188
	v_fma_f32 v137, v137, s64, -v67                            // 0000000093F0: D1CB0089 850C8189
	v_fma_f32 v138, v138, s64, -v67                            // 0000000093F8: D1CB008A 850C818A
	v_fma_f32 v139, v139, s64, -v67                            // 000000009400: D1CB008B 850C818B
	v_fma_f32 v140, v140, s64, -v67                            // 000000009408: D1CB008C 850C818C
	v_fma_f32 v141, v141, s64, -v67                            // 000000009410: D1CB008D 850C818D
	v_fma_f32 v142, v142, s64, -v67                            // 000000009418: D1CB008E 850C818E
	v_fma_f32 v143, v143, s64, -v67                            // 000000009420: D1CB008F 850C818F
	v_exp_f32_e32 v128, v128                                   // 000000009428: 7F004180
	v_exp_f32_e32 v129, v129                                   // 00000000942C: 7F024181
	v_exp_f32_e32 v130, v130                                   // 000000009430: 7F044182
	v_exp_f32_e32 v131, v131                                   // 000000009434: 7F064183
	v_exp_f32_e32 v132, v132                                   // 000000009438: 7F084184
	v_exp_f32_e32 v133, v133                                   // 00000000943C: 7F0A4185
	v_exp_f32_e32 v134, v134                                   // 000000009440: 7F0C4186
	v_exp_f32_e32 v135, v135                                   // 000000009444: 7F0E4187
	v_exp_f32_e32 v136, v136                                   // 000000009448: 7F104188
	v_exp_f32_e32 v137, v137                                   // 00000000944C: 7F124189
	v_exp_f32_e32 v138, v138                                   // 000000009450: 7F14418A
	v_exp_f32_e32 v139, v139                                   // 000000009454: 7F16418B
	v_exp_f32_e32 v140, v140                                   // 000000009458: 7F18418C
	v_exp_f32_e32 v141, v141                                   // 00000000945C: 7F1A418D
	v_exp_f32_e32 v142, v142                                   // 000000009460: 7F1C418E
	v_exp_f32_e32 v143, v143                                   // 000000009464: 7F1E418F
	v_mul_f32_dpp v240, v252, v128 quad_perm:[0,0,0,0] row_mask:0xf bank_mask:0xf// 000000009468: 0BE100FA FF0000FC
	v_mul_f32_dpp v241, v252, v129 quad_perm:[1,1,1,1] row_mask:0xf bank_mask:0xf// 000000009470: 0BE302FA FF0055FC
	v_mul_f32_dpp v242, v252, v130 quad_perm:[2,2,2,2] row_mask:0xf bank_mask:0xf// 000000009478: 0BE504FA FF00AAFC
	v_mul_f32_dpp v243, v252, v131 quad_perm:[3,3,3,3] row_mask:0xf bank_mask:0xf// 000000009480: 0BE706FA FF00FFFC
	v_mul_f32_dpp v244, v253, v132 quad_perm:[0,0,0,0] row_mask:0xf bank_mask:0xf// 000000009488: 0BE908FA FF0000FD
	v_mul_f32_dpp v245, v253, v133 quad_perm:[1,1,1,1] row_mask:0xf bank_mask:0xf// 000000009490: 0BEB0AFA FF0055FD
	v_mul_f32_dpp v246, v253, v134 quad_perm:[2,2,2,2] row_mask:0xf bank_mask:0xf// 000000009498: 0BED0CFA FF00AAFD
	v_mul_f32_dpp v247, v253, v135 quad_perm:[3,3,3,3] row_mask:0xf bank_mask:0xf// 0000000094A0: 0BEF0EFA FF00FFFD
	v_mul_f32_dpp v248, v254, v136 quad_perm:[0,0,0,0] row_mask:0xf bank_mask:0xf// 0000000094A8: 0BF110FA FF0000FE
	v_mul_f32_dpp v249, v254, v137 quad_perm:[1,1,1,1] row_mask:0xf bank_mask:0xf// 0000000094B0: 0BF312FA FF0055FE
	v_mul_f32_dpp v250, v254, v138 quad_perm:[2,2,2,2] row_mask:0xf bank_mask:0xf// 0000000094B8: 0BF514FA FF00AAFE
	v_mul_f32_dpp v251, v254, v139 quad_perm:[3,3,3,3] row_mask:0xf bank_mask:0xf// 0000000094C0: 0BF716FA FF00FFFE
	v_mul_f32_dpp v252, v255, v140 quad_perm:[0,0,0,0] row_mask:0xf bank_mask:0xf// 0000000094C8: 0BF918FA FF0000FF
	v_mul_f32_dpp v253, v255, v141 quad_perm:[1,1,1,1] row_mask:0xf bank_mask:0xf// 0000000094D0: 0BFB1AFA FF0055FF
	v_mul_f32_dpp v254, v255, v142 quad_perm:[2,2,2,2] row_mask:0xf bank_mask:0xf// 0000000094D8: 0BFD1CFA FF00AAFF
	v_mul_f32_dpp v255, v255, v143 quad_perm:[3,3,3,3] row_mask:0xf bank_mask:0xf// 0000000094E0: 0BFF1EFA FF00FFFF
	v_mov_b32_e32 v62, 0x358637bd                              // 0000000094E8: 7E7C02FF 358637BD
	v_max3_f32 v62, |v240|, |v241|, v62                        // 0000000094F0: D1D3033E 04FBE3F0
	v_max3_f32 v62, |v242|, |v243|, v62                        // 0000000094F8: D1D3033E 04FBE7F2
	v_max3_f32 v62, |v244|, |v245|, v62                        // 000000009500: D1D3033E 04FBEBF4
	v_max3_f32 v62, |v246|, |v247|, v62                        // 000000009508: D1D3033E 04FBEFF6
	v_max3_f32 v62, |v248|, |v249|, v62                        // 000000009510: D1D3033E 04FBF3F8
	v_max3_f32 v62, |v250|, |v251|, v62                        // 000000009518: D1D3033E 04FBF7FA
	v_max3_f32 v62, |v252|, |v253|, v62                        // 000000009520: D1D3033E 04FBFBFC
	v_max3_f32 v62, |v254|, |v255|, v62                        // 000000009528: D1D3033E 04FBFFFE
	ds_write_b32 v11, v62 offset:20992                         // 000000009530: D81A5200 00003E0B
	v_sub_f32_e32 v63, v14, v18                                // 000000009538: 047E250E
	v_cndmask_b32_e64 v63, v63, 0, s[40:41]                    // 00000000953C: D100003F 00A1013F
	v_mov_b32_e32 v14, v18                                     // 000000009544: 7E1C0312
	v_mul_f32_e32 v63, s64, v63                                // 000000009548: 0A7E7E40
	v_exp_f32_e32 v63, v63                                     // 00000000954C: 7E7E413F
	s_waitcnt lgkmcnt(0)                                       // 000000009550: BF8CC07F
	s_barrier                                                  // 000000009554: BF8A0000
	ds_read_b32 v80, v10 offset:20992                          // 000000009558: D86C5200 5000000A
	ds_read_b32 v81, v10 offset:21056                          // 000000009560: D86C5240 5100000A
	ds_read_b32 v82, v10 offset:21120                          // 000000009568: D86C5280 5200000A
	ds_read_b32 v83, v10 offset:21184                          // 000000009570: D86C52C0 5300000A
	ds_read_b32 v84, v10 offset:21248                          // 000000009578: D86C5300 5400000A
	ds_read_b32 v85, v10 offset:21312                          // 000000009580: D86C5340 5500000A
	ds_read_b32 v86, v10 offset:21376                          // 000000009588: D86C5380 5600000A
	ds_read_b32 v87, v10 offset:21440                          // 000000009590: D86C53C0 5700000A
	ds_read_b32 v88, v10 offset:21504                          // 000000009598: D86C5400 5800000A
	ds_read_b32 v89, v10 offset:21568                          // 0000000095A0: D86C5440 5900000A
	ds_read_b32 v90, v10 offset:21632                          // 0000000095A8: D86C5480 5A00000A
	ds_read_b32 v91, v10 offset:21696                          // 0000000095B0: D86C54C0 5B00000A
	ds_read_b32 v92, v10 offset:21760                          // 0000000095B8: D86C5500 5C00000A
	ds_read_b32 v93, v10 offset:21824                          // 0000000095C0: D86C5540 5D00000A
	ds_read_b32 v94, v10 offset:21888                          // 0000000095C8: D86C5580 5E00000A
	ds_read_b32 v95, v10 offset:21952                          // 0000000095D0: D86C55C0 5F00000A
	v_mul_f32_e32 v47, v63, v47                                // 0000000095D8: 0A5E5F3F
	v_mov_b32_e32 v18, v128                                    // 0000000095DC: 7E240380
	v_add_f32_e32 v18, v129, v18                               // 0000000095E0: 02242581
	v_add_f32_e32 v18, v130, v18                               // 0000000095E4: 02242582
	v_add_f32_e32 v18, v131, v18                               // 0000000095E8: 02242583
	v_add_f32_e32 v18, v132, v18                               // 0000000095EC: 02242584
	v_add_f32_e32 v18, v133, v18                               // 0000000095F0: 02242585
	v_add_f32_e32 v18, v134, v18                               // 0000000095F4: 02242586
	v_add_f32_e32 v18, v135, v18                               // 0000000095F8: 02242587
	v_add_f32_e32 v18, v136, v18                               // 0000000095FC: 02242588
	v_add_f32_e32 v18, v137, v18                               // 000000009600: 02242589
	v_add_f32_e32 v18, v138, v18                               // 000000009604: 0224258A
	v_add_f32_e32 v18, v139, v18                               // 000000009608: 0224258B
	v_add_f32_e32 v18, v140, v18                               // 00000000960C: 0224258C
	v_add_f32_e32 v18, v141, v18                               // 000000009610: 0224258D
	v_add_f32_e32 v18, v142, v18                               // 000000009614: 0224258E
	v_add_f32_e32 v18, v143, v18                               // 000000009618: 0224258F
	v_add_f32_e32 v47, v18, v47                                // 00000000961C: 025E5F12
	s_waitcnt lgkmcnt(0)                                       // 000000009620: BF8CC07F
	v_max3_f32 v62, |v80|, |v81|, v62                          // 000000009624: D1D3033E 04FAA350
	v_max3_f32 v62, |v82|, |v83|, v62                          // 00000000962C: D1D3033E 04FAA752
	v_max3_f32 v62, |v84|, |v85|, v62                          // 000000009634: D1D3033E 04FAAB54
	v_max3_f32 v62, |v86|, |v87|, v62                          // 00000000963C: D1D3033E 04FAAF56
	v_max3_f32 v62, |v88|, |v89|, v62                          // 000000009644: D1D3033E 04FAB358
	v_max3_f32 v62, |v90|, |v91|, v62                          // 00000000964C: D1D3033E 04FAB75A
	v_max3_f32 v62, |v92|, |v93|, v62                          // 000000009654: D1D3033E 04FABB5C
	v_max3_f32 v62, |v94|, |v95|, v62                          // 00000000965C: D1D3033E 04FABF5E
	s_nop 2                                                    // 000000009664: BF800002
	v_rcp_f32_e32 v62, v62                                     // 000000009668: 7E7C453E
	s_nop 1                                                    // 00000000966C: BF800001
	v_mul_f32_e32 v62, 0x43700000, v62                         // 000000009670: 0A7C7CFF 43700000
	v_mul_f32_e32 v128, v62, v240                              // 000000009678: 0B01E13E
	v_mul_f32_e32 v129, v62, v241                              // 00000000967C: 0B03E33E
	v_mul_f32_e32 v130, v62, v242                              // 000000009680: 0B05E53E
	v_mul_f32_e32 v131, v62, v243                              // 000000009684: 0B07E73E
	v_mul_f32_e32 v132, v62, v244                              // 000000009688: 0B09E93E
	v_mul_f32_e32 v133, v62, v245                              // 00000000968C: 0B0BEB3E
	v_mul_f32_e32 v134, v62, v246                              // 000000009690: 0B0DED3E
	v_mul_f32_e32 v135, v62, v247                              // 000000009694: 0B0FEF3E
	v_mul_f32_e32 v136, v62, v248                              // 000000009698: 0B11F13E
	v_mul_f32_e32 v137, v62, v249                              // 00000000969C: 0B13F33E
	v_mul_f32_e32 v138, v62, v250                              // 0000000096A0: 0B15F53E
	v_mul_f32_e32 v139, v62, v251                              // 0000000096A4: 0B17F73E
	v_mul_f32_e32 v140, v62, v252                              // 0000000096A8: 0B19F93E
	v_mul_f32_e32 v141, v62, v253                              // 0000000096AC: 0B1BFB3E
	v_mul_f32_e32 v142, v62, v254                              // 0000000096B0: 0B1DFD3E
	v_mul_f32_e32 v143, v62, v255                              // 0000000096B4: 0B1FFF3E
	v_cvt_pk_fp8_f32 v128, v128, v129                          // 0000000096B8: D2A20080 00030380
	v_cvt_pk_fp8_f32 v128, v130, v131 op_sel:[0,0,1]           // 0000000096C0: D2A24080 00030782
	v_cvt_pk_fp8_f32 v129, v132, v133                          // 0000000096C8: D2A20081 00030B84
	v_cvt_pk_fp8_f32 v129, v134, v135 op_sel:[0,0,1]           // 0000000096D0: D2A24081 00030F86
	v_cvt_pk_fp8_f32 v130, v136, v137                          // 0000000096D8: D2A20082 00031388
	v_cvt_pk_fp8_f32 v130, v138, v139 op_sel:[0,0,1]           // 0000000096E0: D2A24082 0003178A
	v_cvt_pk_fp8_f32 v131, v140, v141                          // 0000000096E8: D2A20083 00031B8C
	v_cvt_pk_fp8_f32 v131, v142, v143 op_sel:[0,0,1]           // 0000000096F0: D2A24083 00031F8E
	ds_write_b32 v13, v128 offset:25088                        // 0000000096F8: D81A6200 0000800D
	ds_write_b32 v13, v129 offset:26112                        // 000000009700: D81A6600 0000810D
	ds_write_b32 v13, v130 offset:27136                        // 000000009708: D81A6A00 0000820D
	ds_write_b32 v13, v131 offset:28160                        // 000000009710: D81A6E00 0000830D
	v_add_f32_e32 v224, v224, v192                             // 000000009718: 03C181E0
	v_add_f32_e32 v225, v225, v193                             // 00000000971C: 03C383E1
	v_add_f32_e32 v226, v226, v194                             // 000000009720: 03C585E2
	v_add_f32_e32 v227, v227, v195                             // 000000009724: 03C787E3
	v_add_f32_e32 v228, v228, v196                             // 000000009728: 03C989E4
	v_add_f32_e32 v229, v229, v197                             // 00000000972C: 03CB8BE5
	v_add_f32_e32 v230, v230, v198                             // 000000009730: 03CD8DE6
	v_add_f32_e32 v231, v231, v199                             // 000000009734: 03CF8FE7
	v_rcp_f32_e32 v58, v62                                     // 000000009738: 7E74453E
	s_waitcnt lgkmcnt(0)                                       // 00000000973C: BF8CC07F
	s_barrier                                                  // 000000009740: BF8A0000
	ds_read_b64 v[128:129], v12 offset:25088                   // 000000009744: D8EC6200 8000000C
	ds_read_b64 v[130:131], v12 offset:25216                   // 00000000974C: D8EC6280 8200000C
	ds_read_b64 v[132:133], v12 offset:26112                   // 000000009754: D8EC6600 8400000C
	ds_read_b64 v[134:135], v12 offset:26240                   // 00000000975C: D8EC6680 8600000C
	ds_read_b64 v[136:137], v12 offset:27136                   // 000000009764: D8EC6A00 8800000C
	ds_read_b64 v[138:139], v12 offset:27264                   // 00000000976C: D8EC6A80 8A00000C
	ds_read_b64 v[140:141], v12 offset:28160                   // 000000009774: D8EC6E00 8C00000C
	ds_read_b64 v[142:143], v12 offset:28288                   // 00000000977C: D8EC6E80 8E00000C
	s_waitcnt vmcnt(0)                                         // 000000009784: BF8C0F70
	s_barrier                                                  // 000000009788: BF8A0000
	s_waitcnt lgkmcnt(7)                                       // 00000000978C: BF8CC77F
	v_mfma_f32_16x16x32_fp8_fp8 v[192:195], a[96:97], v[128:129], 0// 000000009790: D3F300C0 0A030160
	s_waitcnt lgkmcnt(6)                                       // 000000009798: BF8CC67F
	v_mfma_f32_16x16x32_fp8_fp8 v[192:195], a[98:99], v[130:131], v[192:195]// 00000000979C: D3F300C0 0F030562
	s_waitcnt lgkmcnt(5)                                       // 0000000097A4: BF8CC57F
	v_mfma_f32_16x16x32_fp8_fp8 v[192:195], a[100:101], v[132:133], v[192:195]// 0000000097A8: D3F300C0 0F030964
	s_waitcnt lgkmcnt(4)                                       // 0000000097B0: BF8CC47F
	v_mfma_f32_16x16x32_fp8_fp8 v[192:195], a[102:103], v[134:135], v[192:195]// 0000000097B4: D3F300C0 0F030D66
	s_waitcnt lgkmcnt(3)                                       // 0000000097BC: BF8CC37F
	v_mfma_f32_16x16x32_fp8_fp8 v[192:195], a[104:105], v[136:137], v[192:195]// 0000000097C0: D3F300C0 0F031168
	s_waitcnt lgkmcnt(2)                                       // 0000000097C8: BF8CC27F
	v_mfma_f32_16x16x32_fp8_fp8 v[192:195], a[106:107], v[138:139], v[192:195]// 0000000097CC: D3F300C0 0F03156A
	s_waitcnt lgkmcnt(1)                                       // 0000000097D4: BF8CC17F
	v_mfma_f32_16x16x32_fp8_fp8 v[192:195], a[108:109], v[140:141], v[192:195]// 0000000097D8: D3F300C0 0F03196C
	s_waitcnt lgkmcnt(0)                                       // 0000000097E0: BF8CC07F
	v_mfma_f32_16x16x32_fp8_fp8 v[192:195], a[110:111], v[142:143], v[192:195]// 0000000097E4: D3F300C0 0F031D6E
	v_mfma_f32_16x16x32_fp8_fp8 v[196:199], a[112:113], v[128:129], 0// 0000000097EC: D3F300C4 0A030170
	v_mfma_f32_16x16x32_fp8_fp8 v[196:199], a[114:115], v[130:131], v[196:199]// 0000000097F4: D3F300C4 0F130572
	v_mfma_f32_16x16x32_fp8_fp8 v[196:199], a[116:117], v[132:133], v[196:199]// 0000000097FC: D3F300C4 0F130974
	v_mfma_f32_16x16x32_fp8_fp8 v[196:199], a[118:119], v[134:135], v[196:199]// 000000009804: D3F300C4 0F130D76
	v_mfma_f32_16x16x32_fp8_fp8 v[196:199], a[120:121], v[136:137], v[196:199]// 00000000980C: D3F300C4 0F131178
	v_mfma_f32_16x16x32_fp8_fp8 v[196:199], a[122:123], v[138:139], v[196:199]// 000000009814: D3F300C4 0F13157A
	v_mfma_f32_16x16x32_fp8_fp8 v[196:199], a[124:125], v[140:141], v[196:199]// 00000000981C: D3F300C4 0F13197C
	v_mfma_f32_16x16x32_fp8_fp8 v[196:199], a[126:127], v[142:143], v[196:199]// 000000009824: D3F300C4 0F131D7E
	s_nop 4                                                    // 00000000982C: BF800004
	s_branch label_1D8D                                        // 000000009830: BF820000

0000000000009834 <label_1D8D>:
	v_mul_f32_e32 v224, v63, v224                              // 000000009834: 0BC1C13F
	v_mul_f32_e32 v225, v63, v225                              // 000000009838: 0BC3C33F
	v_mul_f32_e32 v226, v63, v226                              // 00000000983C: 0BC5C53F
	v_mul_f32_e32 v227, v63, v227                              // 000000009840: 0BC7C73F
	v_mul_f32_e32 v228, v63, v228                              // 000000009844: 0BC9C93F
	v_mul_f32_e32 v229, v63, v229                              // 000000009848: 0BCBCB3F
	v_mul_f32_e32 v230, v63, v230                              // 00000000984C: 0BCDCD3F
	v_mul_f32_e32 v231, v63, v231                              // 000000009850: 0BCFCF3F
	v_mul_f32_e32 v192, v58, v192                              // 000000009854: 0B81813A
	v_mul_f32_e32 v193, v58, v193                              // 000000009858: 0B83833A
	v_mul_f32_e32 v194, v58, v194                              // 00000000985C: 0B85853A
	v_mul_f32_e32 v195, v58, v195                              // 000000009860: 0B87873A
	v_mul_f32_e32 v196, v58, v196                              // 000000009864: 0B89893A
	v_mul_f32_e32 v197, v58, v197                              // 000000009868: 0B8B8B3A
	v_mul_f32_e32 v198, v58, v198                              // 00000000986C: 0B8D8D3A
	v_mul_f32_e32 v199, v58, v199                              // 000000009870: 0B8F8F3A
	v_add_f32_e32 v224, v224, v192                             // 000000009874: 03C181E0
	v_add_f32_e32 v225, v225, v193                             // 000000009878: 03C383E1
	v_add_f32_e32 v226, v226, v194                             // 00000000987C: 03C585E2
	v_add_f32_e32 v227, v227, v195                             // 000000009880: 03C787E3
	v_add_f32_e32 v228, v228, v196                             // 000000009884: 03C989E4
	v_add_f32_e32 v229, v229, v197                             // 000000009888: 03CB8BE5
	v_add_f32_e32 v230, v230, v198                             // 00000000988C: 03CD8DE6
	v_add_f32_e32 v231, v231, v199                             // 000000009890: 03CF8FE7
	ds_write_b32 v11, v47 offset:16896                         // 000000009894: D81A4200 00002F0B
	s_waitcnt lgkmcnt(0)                                       // 00000000989C: BF8CC07F
	s_barrier                                                  // 0000000098A0: BF8A0000
	ds_read_b32 v80, v10 offset:16896                          // 0000000098A4: D86C4200 5000000A
	ds_read_b32 v81, v10 offset:16960                          // 0000000098AC: D86C4240 5100000A
	ds_read_b32 v82, v10 offset:17024                          // 0000000098B4: D86C4280 5200000A
	ds_read_b32 v83, v10 offset:17088                          // 0000000098BC: D86C42C0 5300000A
	ds_read_b32 v84, v10 offset:17152                          // 0000000098C4: D86C4300 5400000A
	ds_read_b32 v85, v10 offset:17216                          // 0000000098CC: D86C4340 5500000A
	ds_read_b32 v86, v10 offset:17280                          // 0000000098D4: D86C4380 5600000A
	ds_read_b32 v87, v10 offset:17344                          // 0000000098DC: D86C43C0 5700000A
	ds_read_b32 v88, v10 offset:17408                          // 0000000098E4: D86C4400 5800000A
	ds_read_b32 v89, v10 offset:17472                          // 0000000098EC: D86C4440 5900000A
	ds_read_b32 v90, v10 offset:17536                          // 0000000098F4: D86C4480 5A00000A
	ds_read_b32 v91, v10 offset:17600                          // 0000000098FC: D86C44C0 5B00000A
	ds_read_b32 v92, v10 offset:17664                          // 000000009904: D86C4500 5C00000A
	ds_read_b32 v93, v10 offset:17728                          // 00000000990C: D86C4540 5D00000A
	ds_read_b32 v94, v10 offset:17792                          // 000000009914: D86C4580 5E00000A
	ds_read_b32 v95, v10 offset:17856                          // 00000000991C: D86C45C0 5F00000A
	s_waitcnt lgkmcnt(0)                                       // 000000009924: BF8CC07F
	v_mov_b32_e32 v47, 0                                       // 000000009928: 7E5E0280
	v_add_f32_e32 v47, v80, v47                                // 00000000992C: 025E5F50
	v_add_f32_e32 v47, v81, v47                                // 000000009930: 025E5F51
	v_add_f32_e32 v47, v82, v47                                // 000000009934: 025E5F52
	v_add_f32_e32 v47, v83, v47                                // 000000009938: 025E5F53
	v_add_f32_e32 v47, v84, v47                                // 00000000993C: 025E5F54
	v_add_f32_e32 v47, v85, v47                                // 000000009940: 025E5F55
	v_add_f32_e32 v47, v86, v47                                // 000000009944: 025E5F56
	v_add_f32_e32 v47, v87, v47                                // 000000009948: 025E5F57
	v_add_f32_e32 v47, v88, v47                                // 00000000994C: 025E5F58
	v_add_f32_e32 v47, v89, v47                                // 000000009950: 025E5F59
	v_add_f32_e32 v47, v90, v47                                // 000000009954: 025E5F5A
	v_add_f32_e32 v47, v91, v47                                // 000000009958: 025E5F5B
	v_add_f32_e32 v47, v92, v47                                // 00000000995C: 025E5F5C
	v_add_f32_e32 v47, v93, v47                                // 000000009960: 025E5F5D
	v_add_f32_e32 v47, v94, v47                                // 000000009964: 025E5F5E
	v_add_f32_e32 v47, v95, v47                                // 000000009968: 025E5F5F
	s_nop 1                                                    // 00000000996C: BF800001
	v_rcp_f32_e32 v47, v47                                     // 000000009970: 7E5E452F
	s_nop 1                                                    // 000000009974: BF800001
	v_mul_f32_e32 v224, v47, v224                              // 000000009978: 0BC1C12F
	v_mul_f32_e32 v225, v47, v225                              // 00000000997C: 0BC3C32F
	v_mul_f32_e32 v226, v47, v226                              // 000000009980: 0BC5C52F
	v_mul_f32_e32 v227, v47, v227                              // 000000009984: 0BC7C72F
	v_mul_f32_e32 v228, v47, v228                              // 000000009988: 0BC9C92F
	v_mul_f32_e32 v229, v47, v229                              // 00000000998C: 0BCBCB2F
	v_mul_f32_e32 v230, v47, v230                              // 000000009990: 0BCDCD2F
	v_mul_f32_e32 v231, v47, v231                              // 000000009994: 0BCFCF2F
	v_cmp_u_f32_e64 s[40:41], v224, v224                       // 000000009998: D0480028 0003C1E0
	v_add3_u32 v21, v224, v24, 1                               // 0000000099A0: D1FF0015 020631E0
	v_cndmask_b32_e64 v41, v21, v23, s[40:41]                  // 0000000099A8: D1000029 00A22F15
	v_cmp_u_f32_e64 s[40:41], v225, v225                       // 0000000099B0: D0480028 0003C3E1
	v_add3_u32 v21, v225, v24, 1                               // 0000000099B8: D1FF0015 020631E1
	v_cndmask_b32_e64 v42, v21, v23, s[40:41]                  // 0000000099C0: D100002A 00A22F15
	v_perm_b32 v224, v42, v41, s52                             // 0000000099C8: D1ED00E0 00D2532A
	v_cmp_u_f32_e64 s[40:41], v226, v226                       // 0000000099D0: D0480028 0003C5E2
	v_add3_u32 v21, v226, v24, 1                               // 0000000099D8: D1FF0015 020631E2
	v_cndmask_b32_e64 v41, v21, v23, s[40:41]                  // 0000000099E0: D1000029 00A22F15
	v_cmp_u_f32_e64 s[40:41], v227, v227                       // 0000000099E8: D0480028 0003C7E3
	v_add3_u32 v21, v227, v24, 1                               // 0000000099F0: D1FF0015 020631E3
	v_cndmask_b32_e64 v42, v21, v23, s[40:41]                  // 0000000099F8: D100002A 00A22F15
	v_perm_b32 v225, v42, v41, s52                             // 000000009A00: D1ED00E1 00D2532A
	v_cmp_u_f32_e64 s[40:41], v228, v228                       // 000000009A08: D0480028 0003C9E4
	v_add3_u32 v21, v228, v24, 1                               // 000000009A10: D1FF0015 020631E4
	v_cndmask_b32_e64 v41, v21, v23, s[40:41]                  // 000000009A18: D1000029 00A22F15
	v_cmp_u_f32_e64 s[40:41], v229, v229                       // 000000009A20: D0480028 0003CBE5
	v_add3_u32 v21, v229, v24, 1                               // 000000009A28: D1FF0015 020631E5
	v_cndmask_b32_e64 v42, v21, v23, s[40:41]                  // 000000009A30: D100002A 00A22F15
	v_perm_b32 v226, v42, v41, s52                             // 000000009A38: D1ED00E2 00D2532A
	v_cmp_u_f32_e64 s[40:41], v230, v230                       // 000000009A40: D0480028 0003CDE6
	v_add3_u32 v21, v230, v24, 1                               // 000000009A48: D1FF0015 020631E6
	v_cndmask_b32_e64 v41, v21, v23, s[40:41]                  // 000000009A50: D1000029 00A22F15
	v_cmp_u_f32_e64 s[40:41], v231, v231                       // 000000009A58: D0480028 0003CFE7
	v_add3_u32 v21, v231, v24, 1                               // 000000009A60: D1FF0015 020631E7
	v_cndmask_b32_e64 v42, v21, v23, s[40:41]                  // 000000009A68: D100002A 00A22F15
	v_perm_b32 v227, v42, v41, s52                             // 000000009A70: D1ED00E3 00D2532A
	s_nop 1                                                    // 000000009A78: BF800001
	v_lshrrev_b32_e32 v41, 4, v0                               // 000000009A7C: 20520084
	v_mul_i32_i24_e32 v45, 34, v41                             // 000000009A80: 0C5A52A2
	v_and_b32_e32 v41, 15, v0                                  // 000000009A84: 2652008F
	v_mul_i32_i24_e32 v42, 2, v41                              // 000000009A88: 0C545282
	v_add_u32_e32 v45, v42, v45                                // 000000009A8C: 685A5B2A
	s_mul_i32 s60, s7, 0x88                                    // 000000009A90: 923CFF07 00000088
	v_add_u32_e32 v45, s60, v45                                // 000000009A98: 685A5A3C
	v_lshlrev_b32_e32 v45, 2, v45                              // 000000009A9C: 245A5A82
	ds_write_b64 v45, v[224:225] offset:41472                  // 000000009AA0: D89AA200 0000E02D
	ds_write_b64 v45, v[226:227] offset:43648                  // 000000009AA8: D89AAA80 0000E22D
	v_lshrrev_b32_e32 v41, 1, v0                               // 000000009AB0: 20520081
	v_mul_i32_i24_e32 v45, 34, v41                             // 000000009AB4: 0C5A52A2
	v_and_b32_e32 v42, 1, v0                                   // 000000009AB8: 26540081
	v_add_u32_e32 v45, v42, v45                                // 000000009ABC: 685A5B2A
	s_mul_i32 s60, s7, 2                                       // 000000009AC0: 923C8207
	v_add_u32_e32 v45, s60, v45                                // 000000009AC4: 685A5A3C
	v_lshlrev_b32_e32 v45, 2, v45                              // 000000009AC8: 245A5A82
	s_waitcnt lgkmcnt(0)                                       // 000000009ACC: BF8CC07F
	s_barrier                                                  // 000000009AD0: BF8A0000
	ds_read_b32 v224, v45 offset:41472                         // 000000009AD4: D86CA200 E000002D
	ds_read_b32 v225, v45 offset:41504                         // 000000009ADC: D86CA220 E100002D
	ds_read_b32 v226, v45 offset:41536                         // 000000009AE4: D86CA240 E200002D
	ds_read_b32 v227, v45 offset:41568                         // 000000009AEC: D86CA260 E300002D
	s_mul_i32 s60, s7, 0x100                                   // 000000009AF4: 923CFF07 00000100
	v_lshlrev_b32_e32 v41, 2, v0                               // 000000009AFC: 24520082
	v_add_u32_e64 v41, v41, s60                                // 000000009B00: D1340029 00007929
	s_waitcnt lgkmcnt(0)                                       // 000000009B08: BF8CC07F
	buffer_store_dword v224, v41, s[8:11], 0 offen             // 000000009B0C: E0701000 8002E029
	buffer_store_dword v225, v41, s[8:11], 0 offen offset:1024 // 000000009B14: E0701400 8002E129
	s_add_u32 s8, s75, s8                                      // 000000009B1C: 8008084B
	s_addc_u32 s9, 0, s9                                       // 000000009B20: 82090980
	buffer_store_dword v226, v41, s[8:11], 0 offen             // 000000009B24: E0701000 8002E229
	buffer_store_dword v227, v41, s[8:11], 0 offen offset:1024 // 000000009B2C: E0701400 8002E329
	s_add_u32 s8, s75, s8                                      // 000000009B34: 8008084B
	s_addc_u32 s9, 0, s9                                       // 000000009B38: 82090980
	s_branch label_3E2A                                        // 000000009B3C: BF821FDA

0000000000009b40 <label_1E50>:
	s_mov_b32 s88, 0xa0                                        // 000000009B40: BED800FF 000000A0

0000000000009b48 <label_1E52>:
	s_mul_i32 s60, s3, s65                                     // 000000009B48: 923C4103
	s_mul_i32 s60, s60, 4                                      // 000000009B4C: 923C843C
	s_add_u32 s24, s60, s24                                    // 000000009B50: 8018183C
	s_addc_u32 s25, 0, s25                                     // 000000009B54: 82191980
	s_mov_b32 s56, 64                                          // 000000009B58: BEB800C0
	s_add_u32 s73, s72, 15                                     // 000000009B5C: 80498F48
	s_lshr_b32 s73, s73, 4                                     // 000000009B60: 8F498449
	s_mul_i32 s60, s73, 4                                      // 000000009B64: 923C8449
	s_mov_b32 s26, s60                                         // 000000009B68: BE9A003C
	v_and_b32_e32 v42, 3, v0                                   // 000000009B6C: 26540083
	v_cmp_eq_u32_e64 s[60:61], 0, v42                          // 000000009B70: D0CA003C 00025480
	v_and_b32_e32 v41, 12, v0                                  // 000000009B78: 2652008C
	v_add_u32_e32 v1, s7, v41                                  // 000000009B7C: 68025207
	v_cndmask_b32_e64 v1, 0, v1, s[60:61]                      // 000000009B80: D1000001 00F20280
	v_and_b32_e32 v42, 3, v0                                   // 000000009B88: 26540083
	v_cmp_eq_u32_e64 s[60:61], 1, v42                          // 000000009B8C: D0CA003C 00025481
	v_lshrrev_b32_e32 v41, 4, v0                               // 000000009B94: 20520084
	v_and_b32_e32 v42, 12, v0                                  // 000000009B98: 2654008C
	v_add_u32_e32 v41, v42, v41                                // 000000009B9C: 6852532A
	v_cndmask_b32_e64 v41, 0, v41, s[60:61]                    // 000000009BA0: D1000029 00F25280
	v_add_u32_e32 v1, v1, v41                                  // 000000009BA8: 68025301
	v_lshlrev_b32_e32 v1, 2, v1                                // 000000009BAC: 24020282
	buffer_load_dword v19, v1, s[24:27], 0 offen               // 000000009BB0: E0501000 80061301
	v_add_u32_e32 v1, s56, v1                                  // 000000009BB8: 68020238
	buffer_load_dword v20, v1, s[24:27], 0 offen               // 000000009BBC: E0501000 80061401
	s_cmp_le_u32 s73, 32                                       // 000000009BC4: BF0BA049
	s_cselect_b32 s56, 0, s56                                  // 000000009BC8: 85383880
	s_mul_i32 s60, s2, s67                                     // 000000009BCC: 923C4302
	s_mul_i32 s61, s84, s74                                    // 000000009BD0: 923D4A54
	s_add_u32 s60, s60, s61                                    // 000000009BD4: 803C3D3C
	s_add_u32 s12, s60, s12                                    // 000000009BD8: 800C0C3C
	s_addc_u32 s13, 0, s13                                     // 000000009BDC: 820D0D80
	s_mul_i32 s60, s7, 0x108                                   // 000000009BE0: 923CFF07 00000108
	s_add_u32 m0, 0, s60                                       // 000000009BE8: 807C3C80
	s_mul_i32 s60, s7, 0x100                                   // 000000009BEC: 923CFF07 00000100
	v_lshlrev_b32_e32 v41, 2, v0                               // 000000009BF4: 24520082
	v_add_u32_e64 v41, v41, s60                                // 000000009BF8: D1340029 00007929
	v_add_u32_e32 v42, 0x400, v41                              // 000000009C00: 685452FF 00000400
	buffer_load_dword v41, s[12:15], 0 offen lds               // 000000009C08: E0511000 80030029
	s_mul_i32 s60, 4, 0x108                                    // 000000009C10: 923CFF84 00000108
	s_add_u32 m0, m0, s60                                      // 000000009C18: 807C3C7C
	buffer_load_dword v42, s[12:15], 0 offen lds               // 000000009C1C: E0511000 8003002A
	s_mul_i32 s60, 4, 0x108                                    // 000000009C24: 923CFF84 00000108
	s_add_u32 m0, m0, s60                                      // 000000009C2C: 807C3C7C
	s_add_u32 s12, s74, s12                                    // 000000009C30: 800C0C4A
	s_addc_u32 s13, 0, s13                                     // 000000009C34: 820D0D80
	buffer_load_dword v41, s[12:15], 0 offen lds               // 000000009C38: E0511000 80030029
	s_mul_i32 s60, 4, 0x108                                    // 000000009C40: 923CFF84 00000108
	s_add_u32 m0, m0, s60                                      // 000000009C48: 807C3C7C
	buffer_load_dword v42, s[12:15], 0 offen lds               // 000000009C4C: E0511000 8003002A
	s_mul_i32 s60, 4, 0x108                                    // 000000009C54: 923CFF84 00000108
	s_add_u32 m0, m0, s60                                      // 000000009C5C: 807C3C7C
	s_add_u32 s12, s74, s12                                    // 000000009C60: 800C0C4A
	s_addc_u32 s13, 0, s13                                     // 000000009C64: 820D0D80
	buffer_load_dword v41, s[12:15], 0 offen lds               // 000000009C68: E0511000 80030029
	s_mul_i32 s60, 4, 0x108                                    // 000000009C70: 923CFF84 00000108
	s_add_u32 m0, m0, s60                                      // 000000009C78: 807C3C7C
	buffer_load_dword v42, s[12:15], 0 offen lds               // 000000009C7C: E0511000 8003002A
	s_mul_i32 s60, 4, 0x108                                    // 000000009C84: 923CFF84 00000108
	s_add_u32 m0, m0, s60                                      // 000000009C8C: 807C3C7C
	s_add_u32 s12, s74, s12                                    // 000000009C90: 800C0C4A
	s_addc_u32 s13, 0, s13                                     // 000000009C94: 820D0D80
	buffer_load_dword v41, s[12:15], 0 offen lds               // 000000009C98: E0511000 80030029
	s_mul_i32 s60, 4, 0x108                                    // 000000009CA0: 923CFF84 00000108
	s_add_u32 m0, m0, s60                                      // 000000009CA8: 807C3C7C
	buffer_load_dword v42, s[12:15], 0 offen lds               // 000000009CAC: E0511000 8003002A
	s_mul_i32 s60, 4, 0x108                                    // 000000009CB4: 923CFF84 00000108
	s_add_u32 m0, m0, s60                                      // 000000009CBC: 807C3C7C
	s_add_u32 s12, s74, s12                                    // 000000009CC0: 800C0C4A
	s_addc_u32 s13, 0, s13                                     // 000000009CC4: 820D0D80
	v_lshrrev_b32_e32 v41, 4, v0                               // 000000009CC8: 20520084
	v_lshlrev_b32_e32 v41, 2, v41                              // 000000009CCC: 24525282
	v_and_b32_e32 v42, 3, v0                                   // 000000009CD0: 26540083
	v_add_u32_e32 v41, v42, v41                                // 000000009CD4: 6852532A
	v_lshlrev_b32_e32 v74, 2, v41                              // 000000009CD8: 24945282
	v_mov_b32_e32 v75, v74                                     // 000000009CDC: 7E96034A
	s_mul_i32 s60, s2, 64                                      // 000000009CE0: 923CC002
	s_add_u32 s32, s60, s32                                    // 000000009CE4: 8020203C
	s_addc_u32 s33, 0, s33                                     // 000000009CE8: 82212180
	s_add_u32 s36, s60, s36                                    // 000000009CEC: 8024243C
	s_addc_u32 s37, 0, s37                                     // 000000009CF0: 82252580
	s_mul_i32 s60, s2, s76                                     // 000000009CF4: 923C4C02
	s_mul_i32 s61, s84, s75                                    // 000000009CF8: 923D4B54
	s_add_u32 s60, s60, s61                                    // 000000009CFC: 803C3D3C
	s_add_u32 s8, s60, s8                                      // 000000009D00: 8008083C
	s_addc_u32 s9, 0, s9                                       // 000000009D04: 82090980
	s_mov_b32 s70, 0                                           // 000000009D08: BEC60080
	s_and_b32 s71, s72, 0xffffff00                             // 000000009D0C: 8647FF48 FFFFFF00
	s_mov_b32 s42, 0xff00ff00                                  // 000000009D14: BEAA00FF FF00FF00
	s_mov_b32 s43, 0xff00ff00                                  // 000000009D1C: BEAB00FF FF00FF00
	s_mov_b32 s44, 0xf0f0f0f0                                  // 000000009D24: BEAC00FF F0F0F0F0
	s_mov_b32 s45, 0xf0f0f0f0                                  // 000000009D2C: BEAD00FF F0F0F0F0
	s_mov_b32 s78, 0xff00ff                                    // 000000009D34: BECE00FF 00FF00FF
	s_mov_b32 s79, 0xff00ff                                    // 000000009D3C: BECF00FF 00FF00FF
	v_mul_i32_i24_e64 v78, 64, s66                             // 000000009D44: D106004E 000084C0
	v_mov_b32_e32 v68, s68                                     // 000000009D4C: 7E880244
	s_mov_b32 s52, 0x7060302                                   // 000000009D50: BEB400FF 07060302
	s_mov_b32 s53, 0x400                                       // 000000009D58: BEB500FF 00000400
	s_mov_b32 s54, 0x40100                                     // 000000009D60: BEB600FF 00040100
	s_mov_b32 s55, 0x4020100                                   // 000000009D68: BEB700FF 04020100
	s_mov_b32 s6, 0x3fb8aa3b                                   // 000000009D70: BE8600FF 3FB8AA3B
	v_mov_b32_e32 v14, 0xff800000                              // 000000009D78: 7E1C02FF FF800000
	v_mov_b32_e32 v15, 0xff800000                              // 000000009D80: 7E1E02FF FF800000
	v_mov_b32_e32 v63, 0                                       // 000000009D88: 7E7E0280
	v_mov_b32_e32 v64, 0                                       // 000000009D8C: 7E800280
	v_mov_b32_e32 v47, 0                                       // 000000009D90: 7E5E0280
	v_mov_b32_e32 v48, 0                                       // 000000009D94: 7E600280
	v_mov_b32_e32 v58, 0                                       // 000000009D98: 7E740280
	v_mov_b32_e32 v59, 0                                       // 000000009D9C: 7E760280
	v_mov_b32_e32 v22, 0xffff0000                              // 000000009DA0: 7E2C02FF FFFF0000
	v_mov_b32_e32 v23, 0x7fff0000                              // 000000009DA8: 7E2E02FF 7FFF0000
	v_mov_b32_e32 v24, 0x7fff                                  // 000000009DB0: 7E3002FF 00007FFF
	v_add_u32_e32 v1, s56, v1                                  // 000000009DB8: 68020238
	v_and_b32_e32 v10, 15, v0                                  // 000000009DBC: 2614008F
	v_lshlrev_b32_e32 v10, 2, v10                              // 000000009DC0: 24141482
	v_lshlrev_b32_e32 v11, 2, v0                               // 000000009DC4: 24160082
	s_mul_i32 s60, 0x100, s7                                   // 000000009DC8: 923C07FF 00000100
	v_add_u32_e32 v11, s60, v11                                // 000000009DD0: 6816163C
	v_lshrrev_b32_e32 v41, 4, v0                               // 000000009DD4: 20520084
	v_lshlrev_b32_e32 v42, 6, v41                              // 000000009DD8: 24545286
	v_and_b32_e32 v41, 15, v0                                  // 000000009DDC: 2652008F
	v_lshlrev_b32_e32 v41, 1, v41                              // 000000009DE0: 24525281
	v_add_u32_e32 v42, v41, v42                                // 000000009DE4: 68545529
	v_lshlrev_b32_e32 v12, 2, v42                              // 000000009DE8: 24185482
	v_lshrrev_b32_e32 v41, 5, v0                               // 000000009DEC: 20520085
	v_lshlrev_b32_e32 v42, 5, v41                              // 000000009DF0: 24545285
	v_and_b32_e32 v41, 31, v0                                  // 000000009DF4: 2652009F
	v_lshrrev_b32_e32 v43, 4, v41                              // 000000009DF8: 20565284
	v_add_u32_e32 v42, v43, v42                                // 000000009DFC: 6854552B
	v_and_b32_e32 v41, 15, v0                                  // 000000009E00: 2652008F
	v_lshlrev_b32_e32 v41, 1, v41                              // 000000009E04: 24525281
	v_add_u32_e32 v42, v41, v42                                // 000000009E08: 68545529
	v_lshlrev_b32_e32 v41, 2, v42                              // 000000009E0C: 24525482
	s_mul_i32 s60, 0x100, s7                                   // 000000009E10: 923C07FF 00000100
	v_add_u32_e64 v13, v41, s60                                // 000000009E18: D134000D 00007929
	v_lshlrev_b32_e32 v6, 4, v0                                // 000000009E20: 240C0084
	s_mul_i32 s60, s2, s69                                     // 000000009E24: 923C4502
	s_add_u32 s16, s60, s16                                    // 000000009E28: 8010103C
	s_addc_u32 s17, 0, s17                                     // 000000009E2C: 82111180
	v_and_b32_e32 v41, 15, v0                                  // 000000009E30: 2652008F
	v_lshlrev_b32_e32 v7, 4, v41                               // 000000009E34: 240E5284
	s_mul_i32 s61, s2, s69                                     // 000000009E38: 923D4502
	s_mul_i32 s60, s7, 0x100                                   // 000000009E3C: 923CFF07 00000100
	s_add_u32 s60, s60, s61                                    // 000000009E44: 803C3D3C
	s_add_u32 s20, s60, s20                                    // 000000009E48: 8014143C
	s_addc_u32 s21, 0, s21                                     // 000000009E4C: 82151580
	s_waitcnt vmcnt(4)                                         // 000000009E50: BF8C0F74
	v_mul_u32_u24_dpp v41, v19, v68 row_newbcast:0 row_mask:0xf bank_mask:0xf// 000000009E54: 105288FA FF015013
	v_mul_u32_u24_dpp v42, v19, v68 row_newbcast:4 row_mask:0xf bank_mask:0xf// 000000009E5C: 105488FA FF015413
	v_mul_u32_u24_dpp v43, v19, v68 row_newbcast:8 row_mask:0xf bank_mask:0xf// 000000009E64: 105688FA FF015813
	v_mul_u32_u24_dpp v44, v19, v68 row_newbcast:12 row_mask:0xf bank_mask:0xf// 000000009E6C: 105888FA FF015C13
	v_add_u32_e32 v25, v41, v6                                 // 000000009E74: 68320D29
	v_add_u32_e32 v26, v42, v6                                 // 000000009E78: 68340D2A
	v_add_u32_e32 v27, v43, v6                                 // 000000009E7C: 68360D2B
	v_add_u32_e32 v28, v44, v6                                 // 000000009E80: 68380D2C
	v_mul_u32_u24_dpp v41, v19, v68 row_newbcast:1 row_mask:0xf bank_mask:0xf// 000000009E84: 105288FA FF015113
	v_mul_u32_u24_dpp v42, v19, v68 row_newbcast:5 row_mask:0xf bank_mask:0xf// 000000009E8C: 105488FA FF015513
	v_mul_u32_u24_dpp v43, v19, v68 row_newbcast:9 row_mask:0xf bank_mask:0xf// 000000009E94: 105688FA FF015913
	v_mul_u32_u24_dpp v44, v19, v68 row_newbcast:13 row_mask:0xf bank_mask:0xf// 000000009E9C: 105888FA FF015D13
	v_add_u32_e32 v33, v41, v7                                 // 000000009EA4: 68420F29
	v_add_u32_e32 v34, v42, v7                                 // 000000009EA8: 68440F2A
	v_add_u32_e32 v35, v43, v7                                 // 000000009EAC: 68460F2B
	v_add_u32_e32 v36, v44, v7                                 // 000000009EB0: 68480F2C
	v_mul_u32_u24_dpp v41, v19, v78 quad_perm:[0,0,0,0] row_mask:0xf bank_mask:0xf// 000000009EB4: 10529CFA FF000013
	v_add_u32_e32 v2, v41, v74                                 // 000000009EBC: 68049529
	v_mul_u32_u24_dpp v41, v19, v78 quad_perm:[0,0,0,0] row_mask:0xf bank_mask:0xf// 000000009EC0: 10529CFA FF000013
	v_add_u32_e32 v70, v41, v75                                // 000000009EC8: 688C9729
	buffer_load_dword v52, v2, s[32:35], 0 offen               // 000000009ECC: E0501000 80083402
	buffer_load_dwordx4 a[0:3], v25, s[16:19], 0 offen         // 000000009ED4: E05C1000 80840019
	buffer_load_dwordx4 a[4:7], v25, s[16:19], 0 offen offset:1024// 000000009EDC: E05C1400 80840419
	buffer_load_dwordx4 a[8:11], v26, s[16:19], 0 offen        // 000000009EE4: E05C1000 8084081A
	buffer_load_dwordx4 a[12:15], v26, s[16:19], 0 offen offset:1024// 000000009EEC: E05C1400 80840C1A
	buffer_load_dwordx4 a[16:19], v27, s[16:19], 0 offen       // 000000009EF4: E05C1000 8084101B
	buffer_load_dwordx4 a[20:23], v27, s[16:19], 0 offen offset:1024// 000000009EFC: E05C1400 8084141B
	buffer_load_dwordx4 a[24:27], v28, s[16:19], 0 offen       // 000000009F04: E05C1000 8084181C
	buffer_load_dwordx4 a[28:31], v28, s[16:19], 0 offen offset:1024// 000000009F0C: E05C1400 80841C1C
	buffer_load_dword v72, v70, s[36:39], 0 offen              // 000000009F14: E0501000 80094846
	buffer_load_dwordx4 a[64:67], v33, s[20:23], 0 offen       // 000000009F1C: E05C1000 80854021
	buffer_load_dwordx4 a[68:71], v34, s[20:23], 0 offen       // 000000009F24: E05C1000 80854422
	buffer_load_dwordx4 a[72:75], v35, s[20:23], 0 offen       // 000000009F2C: E05C1000 80854823
	buffer_load_dwordx4 a[76:79], v36, s[20:23], 0 offen       // 000000009F34: E05C1000 80854C24
	buffer_load_dwordx4 a[80:83], v33, s[20:23], 0 offen offset:1024// 000000009F3C: E05C1400 80855021
	buffer_load_dwordx4 a[84:87], v34, s[20:23], 0 offen offset:1024// 000000009F44: E05C1400 80855422
	buffer_load_dwordx4 a[88:91], v35, s[20:23], 0 offen offset:1024// 000000009F4C: E05C1400 80855823
	buffer_load_dwordx4 a[92:95], v36, s[20:23], 0 offen offset:1024// 000000009F54: E05C1400 80855C24
	v_lshrrev_b32_e32 v41, 4, v0                               // 000000009F5C: 20520084
	v_lshlrev_b32_e32 v42, 1, v41                              // 000000009F60: 24545281
	v_and_b32_e32 v41, 15, v0                                  // 000000009F64: 2652008F
	v_mul_i32_i24_e32 v41, 0x42, v41                           // 000000009F68: 0C5252FF 00000042
	v_add_u32_e32 v42, v41, v42                                // 000000009F70: 68545529
	v_lshlrev_b32_e32 v4, 2, v42                               // 000000009F74: 24085482
	s_mul_i32 s60, s7, 32                                      // 000000009F78: 923CA007
	v_add_u32_e32 v4, s60, v4                                  // 000000009F7C: 6808083C
	s_waitcnt vmcnt(16) lgkmcnt(0)                             // 000000009F80: BF8C4070
	s_barrier                                                  // 000000009F84: BF8A0000
	ds_read_b64 v[96:97], v4                                   // 000000009F88: D8EC0000 60000004
	ds_read_b64 v[100:101], v4 offset:128                      // 000000009F90: D8EC0080 64000004
	s_waitcnt lgkmcnt(0)                                       // 000000009F98: BF8CC07F
	v_and_b32_e32 v99, 0xffff0000, v97                         // 000000009F9C: 26C6C2FF FFFF0000
	v_lshlrev_b32_e32 v98, 16, v97                             // 000000009FA4: 24C4C290
	v_and_b32_e32 v97, 0xffff0000, v96                         // 000000009FA8: 26C2C0FF FFFF0000
	v_lshlrev_b32_e32 v96, 16, v96                             // 000000009FB0: 24C0C090
	v_and_b32_e32 v103, 0xffff0000, v101                       // 000000009FB4: 26CECAFF FFFF0000
	v_lshlrev_b32_e32 v102, 16, v101                           // 000000009FBC: 24CCCA90
	v_and_b32_e32 v101, 0xffff0000, v100                       // 000000009FC0: 26CAC8FF FFFF0000
	v_lshlrev_b32_e32 v100, 16, v100                           // 000000009FC8: 24C8C890
	v_mov_b32_e32 v62, 0x358637bd                              // 000000009FCC: 7E7C02FF 358637BD
	v_max3_f32 v62, |v96|, |v97|, v62                          // 000000009FD4: D1D3033E 04FAC360
	v_max3_f32 v62, |v98|, |v99|, v62                          // 000000009FDC: D1D3033E 04FAC762
	v_max3_f32 v62, |v100|, |v101|, v62                        // 000000009FE4: D1D3033E 04FACB64
	v_max3_f32 v62, |v102|, |v103|, v62                        // 000000009FEC: D1D3033E 04FACF66
	ds_write_b32 v11, v62 offset:16896                         // 000000009FF4: D81A4200 00003E0B
	s_waitcnt lgkmcnt(0)                                       // 000000009FFC: BF8CC07F
	s_barrier                                                  // 00000000A000: BF8A0000
	ds_read_b32 v80, v10 offset:16896                          // 00000000A004: D86C4200 5000000A
	ds_read_b32 v81, v10 offset:16960                          // 00000000A00C: D86C4240 5100000A
	ds_read_b32 v82, v10 offset:17024                          // 00000000A014: D86C4280 5200000A
	ds_read_b32 v83, v10 offset:17088                          // 00000000A01C: D86C42C0 5300000A
	ds_read_b32 v84, v10 offset:17152                          // 00000000A024: D86C4300 5400000A
	ds_read_b32 v85, v10 offset:17216                          // 00000000A02C: D86C4340 5500000A
	ds_read_b32 v86, v10 offset:17280                          // 00000000A034: D86C4380 5600000A
	ds_read_b32 v87, v10 offset:17344                          // 00000000A03C: D86C43C0 5700000A
	ds_read_b32 v88, v10 offset:17408                          // 00000000A044: D86C4400 5800000A
	ds_read_b32 v89, v10 offset:17472                          // 00000000A04C: D86C4440 5900000A
	ds_read_b32 v90, v10 offset:17536                          // 00000000A054: D86C4480 5A00000A
	ds_read_b32 v91, v10 offset:17600                          // 00000000A05C: D86C44C0 5B00000A
	ds_read_b32 v92, v10 offset:17664                          // 00000000A064: D86C4500 5C00000A
	ds_read_b32 v93, v10 offset:17728                          // 00000000A06C: D86C4540 5D00000A
	ds_read_b32 v94, v10 offset:17792                          // 00000000A074: D86C4580 5E00000A
	ds_read_b32 v95, v10 offset:17856                          // 00000000A07C: D86C45C0 5F00000A
	s_waitcnt lgkmcnt(0)                                       // 00000000A084: BF8CC07F
	v_max3_f32 v62, |v80|, |v81|, v62                          // 00000000A088: D1D3033E 04FAA350
	v_max3_f32 v62, |v82|, |v83|, v62                          // 00000000A090: D1D3033E 04FAA752
	v_max3_f32 v62, |v84|, |v85|, v62                          // 00000000A098: D1D3033E 04FAAB54
	v_max3_f32 v62, |v86|, |v87|, v62                          // 00000000A0A0: D1D3033E 04FAAF56
	v_max3_f32 v62, |v88|, |v89|, v62                          // 00000000A0A8: D1D3033E 04FAB358
	v_max3_f32 v62, |v90|, |v91|, v62                          // 00000000A0B0: D1D3033E 04FAB75A
	v_max3_f32 v62, |v92|, |v93|, v62                          // 00000000A0B8: D1D3033E 04FABB5C
	v_max3_f32 v62, |v94|, |v95|, v62                          // 00000000A0C0: D1D3033E 04FABF5E
	v_rcp_f32_e32 v62, v62                                     // 00000000A0C8: 7E7C453E
	s_nop 1                                                    // 00000000A0CC: BF800001
	v_mul_f32_e32 v62, 0x43700000, v62                         // 00000000A0D0: 0A7C7CFF 43700000
	v_mul_f32_e32 v96, v62, v96                                // 00000000A0D8: 0AC0C13E
	v_mul_f32_e32 v97, v62, v97                                // 00000000A0DC: 0AC2C33E
	v_mul_f32_e32 v98, v62, v98                                // 00000000A0E0: 0AC4C53E
	v_mul_f32_e32 v99, v62, v99                                // 00000000A0E4: 0AC6C73E
	v_mul_f32_e32 v100, v62, v100                              // 00000000A0E8: 0AC8C93E
	v_mul_f32_e32 v101, v62, v101                              // 00000000A0EC: 0ACACB3E
	v_mul_f32_e32 v102, v62, v102                              // 00000000A0F0: 0ACCCD3E
	v_mul_f32_e32 v103, v62, v103                              // 00000000A0F4: 0ACECF3E
	v_rcp_f32_e32 v54, v62                                     // 00000000A0F8: 7E6C453E
	v_cvt_pk_fp8_f32 v96, v96, v97                             // 00000000A0FC: D2A20060 0002C360
	v_cvt_pk_fp8_f32 v96, v98, v99 op_sel:[0,0,1]              // 00000000A104: D2A24060 0002C762
	v_cvt_pk_fp8_f32 v97, v100, v101                           // 00000000A10C: D2A20061 0002CB64
	v_cvt_pk_fp8_f32 v97, v102, v103 op_sel:[0,0,1]            // 00000000A114: D2A24061 0002CF66
	ds_write_b32 v13, v96 offset:25088                         // 00000000A11C: D81A6200 0000600D
	ds_write_b32 v13, v97 offset:26112                         // 00000000A124: D81A6600 0000610D
	s_waitcnt lgkmcnt(0)                                       // 00000000A12C: BF8CC07F
	s_barrier                                                  // 00000000A130: BF8A0000
	ds_read_b64 v[96:97], v12 offset:25088                     // 00000000A134: D8EC6200 6000000C
	ds_read_b64 v[98:99], v12 offset:25216                     // 00000000A13C: D8EC6280 6200000C
	ds_read_b64 v[100:101], v12 offset:26112                   // 00000000A144: D8EC6600 6400000C
	ds_read_b64 v[102:103], v12 offset:26240                   // 00000000A14C: D8EC6680 6600000C
	v_mov_b32_e32 v224, 0                                      // 00000000A154: 7FC00280
	v_mov_b32_e32 v225, 0                                      // 00000000A158: 7FC20280
	v_mov_b32_e32 v226, 0                                      // 00000000A15C: 7FC40280
	v_mov_b32_e32 v227, 0                                      // 00000000A160: 7FC60280
	v_mov_b32_e32 v228, 0                                      // 00000000A164: 7FC80280
	v_mov_b32_e32 v229, 0                                      // 00000000A168: 7FCA0280
	v_mov_b32_e32 v230, 0                                      // 00000000A16C: 7FCC0280
	v_mov_b32_e32 v231, 0                                      // 00000000A170: 7FCE0280
	v_mov_b32_e32 v192, 0                                      // 00000000A174: 7F800280
	v_mov_b32_e32 v193, 0                                      // 00000000A178: 7F820280
	v_mov_b32_e32 v194, 0                                      // 00000000A17C: 7F840280
	v_mov_b32_e32 v195, 0                                      // 00000000A180: 7F860280
	v_mov_b32_e32 v196, 0                                      // 00000000A184: 7F880280
	v_mov_b32_e32 v197, 0                                      // 00000000A188: 7F8A0280
	v_mov_b32_e32 v198, 0                                      // 00000000A18C: 7F8C0280
	v_mov_b32_e32 v199, 0                                      // 00000000A190: 7F8E0280
	ds_read_b64 v[104:105], v4 offset:4224                     // 00000000A194: D8EC1080 68000004
	ds_read_b64 v[108:109], v4 offset:4352                     // 00000000A19C: D8EC1100 6C000004
	s_waitcnt lgkmcnt(0)                                       // 00000000A1A4: BF8CC07F
	v_and_b32_e32 v107, 0xffff0000, v105                       // 00000000A1A8: 26D6D2FF FFFF0000
	v_lshlrev_b32_e32 v106, 16, v105                           // 00000000A1B0: 24D4D290
	v_and_b32_e32 v105, 0xffff0000, v104                       // 00000000A1B4: 26D2D0FF FFFF0000
	v_lshlrev_b32_e32 v104, 16, v104                           // 00000000A1BC: 24D0D090
	v_and_b32_e32 v111, 0xffff0000, v109                       // 00000000A1C0: 26DEDAFF FFFF0000
	v_lshlrev_b32_e32 v110, 16, v109                           // 00000000A1C8: 24DCDA90
	v_and_b32_e32 v109, 0xffff0000, v108                       // 00000000A1CC: 26DAD8FF FFFF0000
	v_lshlrev_b32_e32 v108, 16, v108                           // 00000000A1D4: 24D8D890
	v_mov_b32_e32 v62, 0x358637bd                              // 00000000A1D8: 7E7C02FF 358637BD
	v_max3_f32 v62, |v104|, |v105|, v62                        // 00000000A1E0: D1D3033E 04FAD368
	v_max3_f32 v62, |v106|, |v107|, v62                        // 00000000A1E8: D1D3033E 04FAD76A
	v_max3_f32 v62, |v108|, |v109|, v62                        // 00000000A1F0: D1D3033E 04FADB6C
	v_max3_f32 v62, |v110|, |v111|, v62                        // 00000000A1F8: D1D3033E 04FADF6E
	ds_write_b32 v11, v62 offset:16896                         // 00000000A200: D81A4200 00003E0B
	s_waitcnt lgkmcnt(0)                                       // 00000000A208: BF8CC07F
	s_barrier                                                  // 00000000A20C: BF8A0000
	ds_read_b32 v80, v10 offset:16896                          // 00000000A210: D86C4200 5000000A
	ds_read_b32 v81, v10 offset:16960                          // 00000000A218: D86C4240 5100000A
	ds_read_b32 v82, v10 offset:17024                          // 00000000A220: D86C4280 5200000A
	ds_read_b32 v83, v10 offset:17088                          // 00000000A228: D86C42C0 5300000A
	ds_read_b32 v84, v10 offset:17152                          // 00000000A230: D86C4300 5400000A
	ds_read_b32 v85, v10 offset:17216                          // 00000000A238: D86C4340 5500000A
	ds_read_b32 v86, v10 offset:17280                          // 00000000A240: D86C4380 5600000A
	ds_read_b32 v87, v10 offset:17344                          // 00000000A248: D86C43C0 5700000A
	ds_read_b32 v88, v10 offset:17408                          // 00000000A250: D86C4400 5800000A
	ds_read_b32 v89, v10 offset:17472                          // 00000000A258: D86C4440 5900000A
	ds_read_b32 v90, v10 offset:17536                          // 00000000A260: D86C4480 5A00000A
	ds_read_b32 v91, v10 offset:17600                          // 00000000A268: D86C44C0 5B00000A
	ds_read_b32 v92, v10 offset:17664                          // 00000000A270: D86C4500 5C00000A
	ds_read_b32 v93, v10 offset:17728                          // 00000000A278: D86C4540 5D00000A
	ds_read_b32 v94, v10 offset:17792                          // 00000000A280: D86C4580 5E00000A
	ds_read_b32 v95, v10 offset:17856                          // 00000000A288: D86C45C0 5F00000A
	s_waitcnt lgkmcnt(0)                                       // 00000000A290: BF8CC07F
	v_max3_f32 v62, |v80|, |v81|, v62                          // 00000000A294: D1D3033E 04FAA350
	v_max3_f32 v62, |v82|, |v83|, v62                          // 00000000A29C: D1D3033E 04FAA752
	v_max3_f32 v62, |v84|, |v85|, v62                          // 00000000A2A4: D1D3033E 04FAAB54
	v_max3_f32 v62, |v86|, |v87|, v62                          // 00000000A2AC: D1D3033E 04FAAF56
	v_max3_f32 v62, |v88|, |v89|, v62                          // 00000000A2B4: D1D3033E 04FAB358
	v_max3_f32 v62, |v90|, |v91|, v62                          // 00000000A2BC: D1D3033E 04FAB75A
	v_max3_f32 v62, |v92|, |v93|, v62                          // 00000000A2C4: D1D3033E 04FABB5C
	v_max3_f32 v62, |v94|, |v95|, v62                          // 00000000A2CC: D1D3033E 04FABF5E
	v_rcp_f32_e32 v62, v62                                     // 00000000A2D4: 7E7C453E
	s_nop 1                                                    // 00000000A2D8: BF800001
	v_mul_f32_e32 v62, 0x43700000, v62                         // 00000000A2DC: 0A7C7CFF 43700000
	v_mul_f32_e32 v104, v62, v104                              // 00000000A2E4: 0AD0D13E
	v_mul_f32_e32 v105, v62, v105                              // 00000000A2E8: 0AD2D33E
	v_mul_f32_e32 v106, v62, v106                              // 00000000A2EC: 0AD4D53E
	v_mul_f32_e32 v107, v62, v107                              // 00000000A2F0: 0AD6D73E
	v_mul_f32_e32 v108, v62, v108                              // 00000000A2F4: 0AD8D93E
	v_mul_f32_e32 v109, v62, v109                              // 00000000A2F8: 0ADADB3E
	v_mul_f32_e32 v110, v62, v110                              // 00000000A2FC: 0ADCDD3E
	v_mul_f32_e32 v111, v62, v111                              // 00000000A300: 0ADEDF3E
	v_rcp_f32_e32 v55, v62                                     // 00000000A304: 7E6E453E
	v_cvt_pk_fp8_f32 v104, v104, v105                          // 00000000A308: D2A20068 0002D368
	v_cvt_pk_fp8_f32 v104, v106, v107 op_sel:[0,0,1]           // 00000000A310: D2A24068 0002D76A
	v_cvt_pk_fp8_f32 v105, v108, v109                          // 00000000A318: D2A20069 0002DB6C
	v_cvt_pk_fp8_f32 v105, v110, v111 op_sel:[0,0,1]           // 00000000A320: D2A24069 0002DF6E
	ds_write_b32 v13, v104 offset:25088                        // 00000000A328: D81A6200 0000680D
	ds_write_b32 v13, v105 offset:26112                        // 00000000A330: D81A6600 0000690D
	s_waitcnt lgkmcnt(0)                                       // 00000000A338: BF8CC07F
	s_barrier                                                  // 00000000A33C: BF8A0000
	ds_read_b64 v[104:105], v12 offset:25088                   // 00000000A340: D8EC6200 6800000C
	ds_read_b64 v[106:107], v12 offset:25216                   // 00000000A348: D8EC6280 6A00000C
	ds_read_b64 v[108:109], v12 offset:26112                   // 00000000A350: D8EC6600 6C00000C
	ds_read_b64 v[110:111], v12 offset:26240                   // 00000000A358: D8EC6680 6E00000C
	v_mov_b32_e32 v232, 0                                      // 00000000A360: 7FD00280
	v_mov_b32_e32 v233, 0                                      // 00000000A364: 7FD20280
	v_mov_b32_e32 v234, 0                                      // 00000000A368: 7FD40280
	v_mov_b32_e32 v235, 0                                      // 00000000A36C: 7FD60280
	v_mov_b32_e32 v236, 0                                      // 00000000A370: 7FD80280
	v_mov_b32_e32 v237, 0                                      // 00000000A374: 7FDA0280
	v_mov_b32_e32 v238, 0                                      // 00000000A378: 7FDC0280
	v_mov_b32_e32 v239, 0                                      // 00000000A37C: 7FDE0280
	v_mov_b32_e32 v200, 0                                      // 00000000A380: 7F900280
	v_mov_b32_e32 v201, 0                                      // 00000000A384: 7F920280
	v_mov_b32_e32 v202, 0                                      // 00000000A388: 7F940280
	v_mov_b32_e32 v203, 0                                      // 00000000A38C: 7F960280
	v_mov_b32_e32 v204, 0                                      // 00000000A390: 7F980280
	v_mov_b32_e32 v205, 0                                      // 00000000A394: 7F9A0280
	v_mov_b32_e32 v206, 0                                      // 00000000A398: 7F9C0280
	v_mov_b32_e32 v207, 0                                      // 00000000A39C: 7F9E0280
	s_waitcnt vmcnt(8) lgkmcnt(0)                              // 00000000A3A0: BF8C0078
	s_barrier                                                  // 00000000A3A4: BF8A0000
	s_cmp_lt_u32 s73, 16                                       // 00000000A3A8: BF0A9049
	s_cbranch_scc1 label_316B                                  // 00000000A3AC: BF8510FF
	s_cmp_lt_i32 s7, 2                                         // 00000000A3B0: BF048207
	s_cbranch_scc0 label_28EE                                  // 00000000A3B4: BF840880

000000000000a3b8 <label_206E>:
	s_waitcnt vmcnt(8) lgkmcnt(0)                              // 00000000A3B8: BF8C0078
	v_mul_u32_u24_dpp v41, v20, v68 row_newbcast:0 row_mask:0xf bank_mask:0xf// 00000000A3BC: 105288FA FF015014
	v_mul_u32_u24_dpp v42, v20, v68 row_newbcast:4 row_mask:0xf bank_mask:0xf// 00000000A3C4: 105488FA FF015414
	v_mul_u32_u24_dpp v43, v20, v68 row_newbcast:8 row_mask:0xf bank_mask:0xf// 00000000A3CC: 105688FA FF015814
	v_mul_u32_u24_dpp v44, v20, v68 row_newbcast:12 row_mask:0xf bank_mask:0xf// 00000000A3D4: 105888FA FF015C14
	v_add_u32_e32 v29, v41, v6                                 // 00000000A3DC: 683A0D29
	v_add_u32_e32 v30, v42, v6                                 // 00000000A3E0: 683C0D2A
	v_add_u32_e32 v31, v43, v6                                 // 00000000A3E4: 683E0D2B
	v_add_u32_e32 v32, v44, v6                                 // 00000000A3E8: 68400D2C
	v_mul_u32_u24_dpp v41, v20, v78 quad_perm:[0,0,0,0] row_mask:0xf bank_mask:0xf// 00000000A3EC: 10529CFA FF000014
	v_add_u32_e32 v3, v41, v74                                 // 00000000A3F4: 68069529
	v_mul_u32_u24_dpp v41, v20, v78 quad_perm:[0,0,0,0] row_mask:0xf bank_mask:0xf// 00000000A3F8: 10529CFA FF000014
	v_add_u32_e32 v71, v41, v75                                // 00000000A400: 688E9729
	v_mfma_f32_16x16x32_fp8_fp8 v[128:131], a[0:1], v[96:97], 0// 00000000A404: D3F30080 0A02C100
	v_mfma_f32_16x16x32_fp8_fp8 v[128:131], a[2:3], v[98:99], v[128:131]// 00000000A40C: D3F30080 0E02C502
	buffer_load_dwordx4 a[32:35], v29, s[16:19], 0 offen       // 00000000A414: E05C1000 8084201D
	v_mfma_f32_16x16x32_fp8_fp8 v[128:131], a[4:5], v[100:101], v[128:131]// 00000000A41C: D3F30080 0E02C904
	v_mfma_f32_16x16x32_fp8_fp8 v[128:131], a[6:7], v[102:103], v[128:131]// 00000000A424: D3F30080 0E02CD06
	buffer_load_dword v19, v1, s[24:27], 0 offen               // 00000000A42C: E0501000 80061301
	v_mfma_f32_16x16x32_fp8_fp8 v[132:135], a[8:9], v[96:97], 0// 00000000A434: D3F30084 0A02C108
	v_mfma_f32_16x16x32_fp8_fp8 v[132:135], a[10:11], v[98:99], v[132:135]// 00000000A43C: D3F30084 0E12C50A
	buffer_load_dwordx4 a[36:39], v29, s[16:19], 0 offen offset:1024// 00000000A444: E05C1400 8084241D
	v_mfma_f32_16x16x32_fp8_fp8 v[132:135], a[12:13], v[100:101], v[132:135]// 00000000A44C: D3F30084 0E12C90C
	v_mfma_f32_16x16x32_fp8_fp8 v[132:135], a[14:15], v[102:103], v[132:135]// 00000000A454: D3F30084 0E12CD0E
	v_mfma_f32_16x16x32_fp8_fp8 v[136:139], a[16:17], v[96:97], 0// 00000000A45C: D3F30088 0A02C110
	v_mfma_f32_16x16x32_fp8_fp8 v[136:139], a[18:19], v[98:99], v[136:139]// 00000000A464: D3F30088 0E22C512
	buffer_load_dwordx4 a[40:43], v30, s[16:19], 0 offen       // 00000000A46C: E05C1000 8084281E
	v_mfma_f32_16x16x32_fp8_fp8 v[136:139], a[20:21], v[100:101], v[136:139]// 00000000A474: D3F30088 0E22C914
	v_mfma_f32_16x16x32_fp8_fp8 v[136:139], a[22:23], v[102:103], v[136:139]// 00000000A47C: D3F30088 0E22CD16
	v_mfma_f32_16x16x32_fp8_fp8 v[140:143], a[24:25], v[96:97], 0// 00000000A484: D3F3008C 0A02C118
	v_mfma_f32_16x16x32_fp8_fp8 v[140:143], a[26:27], v[98:99], v[140:143]// 00000000A48C: D3F3008C 0E32C51A
	buffer_load_dwordx4 a[44:47], v30, s[16:19], 0 offen offset:1024// 00000000A494: E05C1400 80842C1E
	v_mfma_f32_16x16x32_fp8_fp8 v[140:143], a[28:29], v[100:101], v[140:143]// 00000000A49C: D3F3008C 0E32C91C
	v_mfma_f32_16x16x32_fp8_fp8 v[140:143], a[30:31], v[102:103], v[140:143]// 00000000A4A4: D3F3008C 0E32CD1E
	v_mfma_f32_16x16x32_fp8_fp8 v[144:147], a[0:1], v[104:105], 0// 00000000A4AC: D3F30090 0A02D100
	v_mfma_f32_16x16x32_fp8_fp8 v[144:147], a[2:3], v[106:107], v[144:147]// 00000000A4B4: D3F30090 0E42D502
	v_mfma_f32_16x16x32_fp8_fp8 v[144:147], a[4:5], v[108:109], v[144:147]// 00000000A4BC: D3F30090 0E42D904
	v_mfma_f32_16x16x32_fp8_fp8 v[144:147], a[6:7], v[110:111], v[144:147]// 00000000A4C4: D3F30090 0E42DD06
	v_mfma_f32_16x16x32_fp8_fp8 v[148:151], a[8:9], v[104:105], 0// 00000000A4CC: D3F30094 0A02D108
	v_mfma_f32_16x16x32_fp8_fp8 v[148:151], a[10:11], v[106:107], v[148:151]// 00000000A4D4: D3F30094 0E52D50A
	v_mfma_f32_16x16x32_fp8_fp8 v[148:151], a[12:13], v[108:109], v[148:151]// 00000000A4DC: D3F30094 0E52D90C
	v_mfma_f32_16x16x32_fp8_fp8 v[148:151], a[14:15], v[110:111], v[148:151]// 00000000A4E4: D3F30094 0E52DD0E
	v_mfma_f32_16x16x32_fp8_fp8 v[152:155], a[16:17], v[104:105], 0// 00000000A4EC: D3F30098 0A02D110
	v_mfma_f32_16x16x32_fp8_fp8 v[152:155], a[18:19], v[106:107], v[152:155]// 00000000A4F4: D3F30098 0E62D512
	v_mfma_f32_16x16x32_fp8_fp8 v[152:155], a[20:21], v[108:109], v[152:155]// 00000000A4FC: D3F30098 0E62D914
	v_mfma_f32_16x16x32_fp8_fp8 v[152:155], a[22:23], v[110:111], v[152:155]// 00000000A504: D3F30098 0E62DD16
	v_mfma_f32_16x16x32_fp8_fp8 v[156:159], a[24:25], v[104:105], 0// 00000000A50C: D3F3009C 0A02D118
	v_mfma_f32_16x16x32_fp8_fp8 v[156:159], a[26:27], v[106:107], v[156:159]// 00000000A514: D3F3009C 0E72D51A
	v_mfma_f32_16x16x32_fp8_fp8 v[156:159], a[28:29], v[108:109], v[156:159]// 00000000A51C: D3F3009C 0E72D91C
	v_mfma_f32_16x16x32_fp8_fp8 v[156:159], a[30:31], v[110:111], v[156:159]// 00000000A524: D3F3009C 0E72DD1E
	buffer_load_dword v53, v3, s[32:35], 0 offen               // 00000000A52C: E0501000 80083503
	v_mov_b32_dpp v41, v52 row_shr:4 row_mask:0xf bank_mask:0xf// 00000000A534: 7E5202FA FF011434
	v_mov_b32_dpp v42, v52 row_shl:4 row_mask:0xf bank_mask:0xf// 00000000A53C: 7E5402FA FF010434
	v_cndmask_b32_e64 v248, v52, v41, s[44:45]                 // 00000000A544: D10000F8 00B25334
	v_cndmask_b32_e64 v249, v42, v52, s[44:45]                 // 00000000A54C: D10000F9 00B2692A
	v_mov_b32_dpp v41, v248 row_shr:8 row_mask:0xf bank_mask:0xf// 00000000A554: 7E5202FA FF0118F8
	v_mov_b32_dpp v42, v248 row_shl:8 row_mask:0xf bank_mask:0xf// 00000000A55C: 7E5402FA FF0108F8
	v_mov_b32_dpp v43, v249 row_shr:8 row_mask:0xf bank_mask:0xf// 00000000A564: 7E5602FA FF0118F9
	v_mov_b32_dpp v44, v249 row_shl:8 row_mask:0xf bank_mask:0xf// 00000000A56C: 7E5802FA FF0108F9
	v_mov_b32_e32 v45, v248                                    // 00000000A574: 7E5A03F8
	v_mov_b32_e32 v46, v249                                    // 00000000A578: 7E5C03F9
	v_cndmask_b32_e64 v248, v45, v41, s[42:43]                 // 00000000A57C: D10000F8 00AA532D
	v_cndmask_b32_e64 v250, v45, v42, s[78:79]                 // 00000000A584: D10000FA 013A552D
	v_cndmask_b32_e64 v249, v46, v43, s[42:43]                 // 00000000A58C: D10000F9 00AA572E
	v_cndmask_b32_e64 v251, v46, v44, s[78:79]                 // 00000000A594: D10000FB 013A592E
	v_mov_b32_dpp v41, v72 row_shr:4 row_mask:0xf bank_mask:0xf// 00000000A59C: 7E5202FA FF011448
	v_mov_b32_dpp v42, v72 row_shl:4 row_mask:0xf bank_mask:0xf// 00000000A5A4: 7E5402FA FF010448
	v_cndmask_b32_e64 v252, v72, v41, s[44:45]                 // 00000000A5AC: D10000FC 00B25348
	v_cndmask_b32_e64 v253, v42, v72, s[44:45]                 // 00000000A5B4: D10000FD 00B2912A
	v_mov_b32_dpp v41, v252 row_shr:8 row_mask:0xf bank_mask:0xf// 00000000A5BC: 7E5202FA FF0118FC
	v_mov_b32_dpp v42, v252 row_shl:8 row_mask:0xf bank_mask:0xf// 00000000A5C4: 7E5402FA FF0108FC
	v_mov_b32_dpp v43, v253 row_shr:8 row_mask:0xf bank_mask:0xf// 00000000A5CC: 7E5602FA FF0118FD
	v_mov_b32_dpp v44, v253 row_shl:8 row_mask:0xf bank_mask:0xf// 00000000A5D4: 7E5802FA FF0108FD
	v_mov_b32_e32 v45, v252                                    // 00000000A5DC: 7E5A03FC
	v_mov_b32_e32 v46, v253                                    // 00000000A5E0: 7E5C03FD
	v_cndmask_b32_e64 v252, v45, v41, s[42:43]                 // 00000000A5E4: D10000FC 00AA532D
	v_cndmask_b32_e64 v254, v45, v42, s[78:79]                 // 00000000A5EC: D10000FE 013A552D
	v_cndmask_b32_e64 v253, v46, v43, s[42:43]                 // 00000000A5F4: D10000FD 00AA572E
	v_cndmask_b32_e64 v255, v46, v44, s[78:79]                 // 00000000A5FC: D10000FF 013A592E
	buffer_load_dword v73, v71, s[36:39], 0 offen              // 00000000A604: E0501000 80094947
	v_mul_f32_e32 v128, v54, v128                              // 00000000A60C: 0B010136
	v_mul_f32_e32 v129, v54, v129                              // 00000000A610: 0B030336
	v_mul_f32_e32 v130, v54, v130                              // 00000000A614: 0B050536
	v_mul_f32_e32 v131, v54, v131                              // 00000000A618: 0B070736
	v_mul_f32_e32 v132, v54, v132                              // 00000000A61C: 0B090936
	v_mul_f32_e32 v133, v54, v133                              // 00000000A620: 0B0B0B36
	v_mul_f32_e32 v134, v54, v134                              // 00000000A624: 0B0D0D36
	v_mul_f32_e32 v135, v54, v135                              // 00000000A628: 0B0F0F36
	v_mul_f32_e32 v136, v54, v136                              // 00000000A62C: 0B111136
	v_mul_f32_e32 v137, v54, v137                              // 00000000A630: 0B131336
	v_mul_f32_e32 v138, v54, v138                              // 00000000A634: 0B151536
	v_mul_f32_e32 v139, v54, v139                              // 00000000A638: 0B171736
	v_mul_f32_e32 v140, v54, v140                              // 00000000A63C: 0B191936
	v_mul_f32_e32 v141, v54, v141                              // 00000000A640: 0B1B1B36
	v_mul_f32_e32 v142, v54, v142                              // 00000000A644: 0B1D1D36
	v_mul_f32_e32 v143, v54, v143                              // 00000000A648: 0B1F1F36
	buffer_load_dwordx4 a[48:51], v31, s[16:19], 0 offen       // 00000000A64C: E05C1000 8084301F
	v_mul_f32_dpp v128, v248, v128 quad_perm:[0,0,0,0] row_mask:0xf bank_mask:0xf// 00000000A654: 0B0100FA FF0000F8
	v_mul_f32_dpp v129, v248, v129 quad_perm:[1,1,1,1] row_mask:0xf bank_mask:0xf// 00000000A65C: 0B0302FA FF0055F8
	v_mul_f32_dpp v130, v248, v130 quad_perm:[2,2,2,2] row_mask:0xf bank_mask:0xf// 00000000A664: 0B0504FA FF00AAF8
	v_mul_f32_dpp v131, v248, v131 quad_perm:[3,3,3,3] row_mask:0xf bank_mask:0xf// 00000000A66C: 0B0706FA FF00FFF8
	v_mul_f32_dpp v132, v249, v132 quad_perm:[0,0,0,0] row_mask:0xf bank_mask:0xf// 00000000A674: 0B0908FA FF0000F9
	v_mul_f32_dpp v133, v249, v133 quad_perm:[1,1,1,1] row_mask:0xf bank_mask:0xf// 00000000A67C: 0B0B0AFA FF0055F9
	v_mul_f32_dpp v134, v249, v134 quad_perm:[2,2,2,2] row_mask:0xf bank_mask:0xf// 00000000A684: 0B0D0CFA FF00AAF9
	v_mul_f32_dpp v135, v249, v135 quad_perm:[3,3,3,3] row_mask:0xf bank_mask:0xf// 00000000A68C: 0B0F0EFA FF00FFF9
	v_mul_f32_dpp v136, v250, v136 quad_perm:[0,0,0,0] row_mask:0xf bank_mask:0xf// 00000000A694: 0B1110FA FF0000FA
	v_mul_f32_dpp v137, v250, v137 quad_perm:[1,1,1,1] row_mask:0xf bank_mask:0xf// 00000000A69C: 0B1312FA FF0055FA
	v_mul_f32_dpp v138, v250, v138 quad_perm:[2,2,2,2] row_mask:0xf bank_mask:0xf// 00000000A6A4: 0B1514FA FF00AAFA
	v_mul_f32_dpp v139, v250, v139 quad_perm:[3,3,3,3] row_mask:0xf bank_mask:0xf// 00000000A6AC: 0B1716FA FF00FFFA
	v_mul_f32_dpp v140, v251, v140 quad_perm:[0,0,0,0] row_mask:0xf bank_mask:0xf// 00000000A6B4: 0B1918FA FF0000FB
	v_mul_f32_dpp v141, v251, v141 quad_perm:[1,1,1,1] row_mask:0xf bank_mask:0xf// 00000000A6BC: 0B1B1AFA FF0055FB
	v_mul_f32_dpp v142, v251, v142 quad_perm:[2,2,2,2] row_mask:0xf bank_mask:0xf// 00000000A6C4: 0B1D1CFA FF00AAFB
	v_mul_f32_dpp v143, v251, v143 quad_perm:[3,3,3,3] row_mask:0xf bank_mask:0xf// 00000000A6CC: 0B1F1EFA FF00FFFB
	buffer_load_dwordx4 a[52:55], v31, s[16:19], 0 offen offset:1024// 00000000A6D4: E05C1400 8084341F
	v_mov_b32_e32 v62, v128                                    // 00000000A6DC: 7E7C0380
	v_max3_f32 v62, v128, v129, v62                            // 00000000A6E0: D1D3003E 04FB0380
	v_max3_f32 v62, v130, v131, v62                            // 00000000A6E8: D1D3003E 04FB0782
	v_max3_f32 v62, v132, v133, v62                            // 00000000A6F0: D1D3003E 04FB0B84
	v_max3_f32 v62, v134, v135, v62                            // 00000000A6F8: D1D3003E 04FB0F86
	v_max3_f32 v62, v136, v137, v62                            // 00000000A700: D1D3003E 04FB1388
	v_max3_f32 v62, v138, v139, v62                            // 00000000A708: D1D3003E 04FB178A
	v_max3_f32 v62, v140, v141, v62                            // 00000000A710: D1D3003E 04FB1B8C
	v_max3_f32 v62, v142, v143, v62                            // 00000000A718: D1D3003E 04FB1F8E
	ds_write_b32 v11, v62 offset:16896                         // 00000000A720: D81A4200 00003E0B
	buffer_load_dwordx4 a[56:59], v32, s[16:19], 0 offen       // 00000000A728: E05C1000 80843820
	v_mul_u32_u24_dpp v41, v20, v68 row_newbcast:1 row_mask:0xf bank_mask:0xf// 00000000A730: 105288FA FF015114
	v_mul_u32_u24_dpp v42, v20, v68 row_newbcast:5 row_mask:0xf bank_mask:0xf// 00000000A738: 105488FA FF015514
	v_mul_u32_u24_dpp v43, v20, v68 row_newbcast:9 row_mask:0xf bank_mask:0xf// 00000000A740: 105688FA FF015914
	v_mul_u32_u24_dpp v44, v20, v68 row_newbcast:13 row_mask:0xf bank_mask:0xf// 00000000A748: 105888FA FF015D14
	v_add_u32_e32 v37, v41, v7                                 // 00000000A750: 684A0F29
	v_add_u32_e32 v38, v42, v7                                 // 00000000A754: 684C0F2A
	v_add_u32_e32 v39, v43, v7                                 // 00000000A758: 684E0F2B
	v_add_u32_e32 v40, v44, v7                                 // 00000000A75C: 68500F2C
	v_mul_f32_e32 v224, v63, v224                              // 00000000A760: 0BC1C13F
	v_mul_f32_e32 v225, v63, v225                              // 00000000A764: 0BC3C33F
	v_mul_f32_e32 v226, v63, v226                              // 00000000A768: 0BC5C53F
	v_mul_f32_e32 v227, v63, v227                              // 00000000A76C: 0BC7C73F
	v_mul_f32_e32 v228, v63, v228                              // 00000000A770: 0BC9C93F
	v_mul_f32_e32 v229, v63, v229                              // 00000000A774: 0BCBCB3F
	v_mul_f32_e32 v230, v63, v230                              // 00000000A778: 0BCDCD3F
	v_mul_f32_e32 v231, v63, v231                              // 00000000A77C: 0BCFCF3F
	s_waitcnt lgkmcnt(0)                                       // 00000000A780: BF8CC07F
	s_barrier                                                  // 00000000A784: BF8A0000
	ds_read_b32 v80, v10 offset:16896                          // 00000000A788: D86C4200 5000000A
	ds_read_b32 v81, v10 offset:16960                          // 00000000A790: D86C4240 5100000A
	ds_read_b32 v82, v10 offset:17024                          // 00000000A798: D86C4280 5200000A
	ds_read_b32 v83, v10 offset:17088                          // 00000000A7A0: D86C42C0 5300000A
	ds_read_b32 v84, v10 offset:17152                          // 00000000A7A8: D86C4300 5400000A
	ds_read_b32 v85, v10 offset:17216                          // 00000000A7B0: D86C4340 5500000A
	ds_read_b32 v86, v10 offset:17280                          // 00000000A7B8: D86C4380 5600000A
	ds_read_b32 v87, v10 offset:17344                          // 00000000A7C0: D86C43C0 5700000A
	ds_read_b32 v88, v10 offset:17408                          // 00000000A7C8: D86C4400 5800000A
	ds_read_b32 v89, v10 offset:17472                          // 00000000A7D0: D86C4440 5900000A
	ds_read_b32 v90, v10 offset:17536                          // 00000000A7D8: D86C4480 5A00000A
	ds_read_b32 v91, v10 offset:17600                          // 00000000A7E0: D86C44C0 5B00000A
	ds_read_b32 v92, v10 offset:17664                          // 00000000A7E8: D86C4500 5C00000A
	ds_read_b32 v93, v10 offset:17728                          // 00000000A7F0: D86C4540 5D00000A
	ds_read_b32 v94, v10 offset:17792                          // 00000000A7F8: D86C4580 5E00000A
	ds_read_b32 v95, v10 offset:17856                          // 00000000A800: D86C45C0 5F00000A
	buffer_load_dwordx4 a[60:63], v32, s[16:19], 0 offen offset:1024// 00000000A808: E05C1400 80843C20
	v_mul_f32_e32 v192, v58, v192                              // 00000000A810: 0B81813A
	v_mul_f32_e32 v193, v58, v193                              // 00000000A814: 0B83833A
	v_mul_f32_e32 v194, v58, v194                              // 00000000A818: 0B85853A
	v_mul_f32_e32 v195, v58, v195                              // 00000000A81C: 0B87873A
	v_mul_f32_e32 v196, v58, v196                              // 00000000A820: 0B89893A
	v_mul_f32_e32 v197, v58, v197                              // 00000000A824: 0B8B8B3A
	v_mul_f32_e32 v198, v58, v198                              // 00000000A828: 0B8D8D3A
	v_mul_f32_e32 v199, v58, v199                              // 00000000A82C: 0B8F8F3A
	s_waitcnt lgkmcnt(0)                                       // 00000000A830: BF8CC07F
	v_max3_f32 v62, v80, v81, v62                              // 00000000A834: D1D3003E 04FAA350
	v_max3_f32 v62, v82, v83, v62                              // 00000000A83C: D1D3003E 04FAA752
	v_max3_f32 v62, v84, v85, v62                              // 00000000A844: D1D3003E 04FAAB54
	v_max3_f32 v62, v86, v87, v62                              // 00000000A84C: D1D3003E 04FAAF56
	v_max3_f32 v62, v88, v89, v62                              // 00000000A854: D1D3003E 04FAB358
	v_max3_f32 v62, v90, v91, v62                              // 00000000A85C: D1D3003E 04FAB75A
	v_max3_f32 v62, v92, v93, v62                              // 00000000A864: D1D3003E 04FABB5C
	v_max3_f32 v62, v94, v95, v62                              // 00000000A86C: D1D3003E 04FABF5E
	buffer_load_dwordx4 a[96:99], v37, s[20:23], 0 offen       // 00000000A874: E05C1000 80856025
	v_mov_b32_e32 v41, 0xff800000                              // 00000000A87C: 7E5202FF FF800000
	v_cmp_eq_u32_e64 s[40:41], v41, v14                        // 00000000A884: D0CA0028 00021D29
	s_nop 1                                                    // 00000000A88C: BF800001
	v_max_f32_e32 v18, v62, v14                                // 00000000A890: 16241D3E
	v_mul_f32_e32 v67, s64, v18                                // 00000000A894: 0A862440
	v_fma_f32 v128, v128, s64, -v67                            // 00000000A898: D1CB0080 850C8180
	v_fma_f32 v129, v129, s64, -v67                            // 00000000A8A0: D1CB0081 850C8181
	v_fma_f32 v130, v130, s64, -v67                            // 00000000A8A8: D1CB0082 850C8182
	v_fma_f32 v131, v131, s64, -v67                            // 00000000A8B0: D1CB0083 850C8183
	v_fma_f32 v132, v132, s64, -v67                            // 00000000A8B8: D1CB0084 850C8184
	v_fma_f32 v133, v133, s64, -v67                            // 00000000A8C0: D1CB0085 850C8185
	v_fma_f32 v134, v134, s64, -v67                            // 00000000A8C8: D1CB0086 850C8186
	v_fma_f32 v135, v135, s64, -v67                            // 00000000A8D0: D1CB0087 850C8187
	v_fma_f32 v136, v136, s64, -v67                            // 00000000A8D8: D1CB0088 850C8188
	v_fma_f32 v137, v137, s64, -v67                            // 00000000A8E0: D1CB0089 850C8189
	v_fma_f32 v138, v138, s64, -v67                            // 00000000A8E8: D1CB008A 850C818A
	v_fma_f32 v139, v139, s64, -v67                            // 00000000A8F0: D1CB008B 850C818B
	v_fma_f32 v140, v140, s64, -v67                            // 00000000A8F8: D1CB008C 850C818C
	v_fma_f32 v141, v141, s64, -v67                            // 00000000A900: D1CB008D 850C818D
	v_fma_f32 v142, v142, s64, -v67                            // 00000000A908: D1CB008E 850C818E
	v_fma_f32 v143, v143, s64, -v67                            // 00000000A910: D1CB008F 850C818F
	buffer_load_dwordx4 a[100:103], v38, s[20:23], 0 offen     // 00000000A918: E05C1000 80856426
	v_exp_f32_e32 v128, v128                                   // 00000000A920: 7F004180
	v_exp_f32_e32 v129, v129                                   // 00000000A924: 7F024181
	v_exp_f32_e32 v130, v130                                   // 00000000A928: 7F044182
	v_exp_f32_e32 v131, v131                                   // 00000000A92C: 7F064183
	v_exp_f32_e32 v132, v132                                   // 00000000A930: 7F084184
	v_exp_f32_e32 v133, v133                                   // 00000000A934: 7F0A4185
	v_exp_f32_e32 v134, v134                                   // 00000000A938: 7F0C4186
	v_exp_f32_e32 v135, v135                                   // 00000000A93C: 7F0E4187
	v_exp_f32_e32 v136, v136                                   // 00000000A940: 7F104188
	v_exp_f32_e32 v137, v137                                   // 00000000A944: 7F124189
	v_exp_f32_e32 v138, v138                                   // 00000000A948: 7F14418A
	v_exp_f32_e32 v139, v139                                   // 00000000A94C: 7F16418B
	v_exp_f32_e32 v140, v140                                   // 00000000A950: 7F18418C
	v_exp_f32_e32 v141, v141                                   // 00000000A954: 7F1A418D
	v_exp_f32_e32 v142, v142                                   // 00000000A958: 7F1C418E
	v_exp_f32_e32 v143, v143                                   // 00000000A95C: 7F1E418F
	buffer_load_dwordx4 a[104:107], v39, s[20:23], 0 offen     // 00000000A960: E05C1000 80856827
	v_mul_f32_dpp v240, v252, v128 quad_perm:[0,0,0,0] row_mask:0xf bank_mask:0xf// 00000000A968: 0BE100FA FF0000FC
	v_mul_f32_dpp v241, v252, v129 quad_perm:[1,1,1,1] row_mask:0xf bank_mask:0xf// 00000000A970: 0BE302FA FF0055FC
	v_mul_f32_dpp v242, v252, v130 quad_perm:[2,2,2,2] row_mask:0xf bank_mask:0xf// 00000000A978: 0BE504FA FF00AAFC
	v_mul_f32_dpp v243, v252, v131 quad_perm:[3,3,3,3] row_mask:0xf bank_mask:0xf// 00000000A980: 0BE706FA FF00FFFC
	v_mul_f32_dpp v244, v253, v132 quad_perm:[0,0,0,0] row_mask:0xf bank_mask:0xf// 00000000A988: 0BE908FA FF0000FD
	v_mul_f32_dpp v245, v253, v133 quad_perm:[1,1,1,1] row_mask:0xf bank_mask:0xf// 00000000A990: 0BEB0AFA FF0055FD
	v_mul_f32_dpp v246, v253, v134 quad_perm:[2,2,2,2] row_mask:0xf bank_mask:0xf// 00000000A998: 0BED0CFA FF00AAFD
	v_mul_f32_dpp v247, v253, v135 quad_perm:[3,3,3,3] row_mask:0xf bank_mask:0xf// 00000000A9A0: 0BEF0EFA FF00FFFD
	v_mul_f32_dpp v248, v254, v136 quad_perm:[0,0,0,0] row_mask:0xf bank_mask:0xf// 00000000A9A8: 0BF110FA FF0000FE
	v_mul_f32_dpp v249, v254, v137 quad_perm:[1,1,1,1] row_mask:0xf bank_mask:0xf// 00000000A9B0: 0BF312FA FF0055FE
	v_mul_f32_dpp v250, v254, v138 quad_perm:[2,2,2,2] row_mask:0xf bank_mask:0xf// 00000000A9B8: 0BF514FA FF00AAFE
	v_mul_f32_dpp v251, v254, v139 quad_perm:[3,3,3,3] row_mask:0xf bank_mask:0xf// 00000000A9C0: 0BF716FA FF00FFFE
	v_mul_f32_dpp v252, v255, v140 quad_perm:[0,0,0,0] row_mask:0xf bank_mask:0xf// 00000000A9C8: 0BF918FA FF0000FF
	v_mul_f32_dpp v253, v255, v141 quad_perm:[1,1,1,1] row_mask:0xf bank_mask:0xf// 00000000A9D0: 0BFB1AFA FF0055FF
	v_mul_f32_dpp v254, v255, v142 quad_perm:[2,2,2,2] row_mask:0xf bank_mask:0xf// 00000000A9D8: 0BFD1CFA FF00AAFF
	v_mul_f32_dpp v255, v255, v143 quad_perm:[3,3,3,3] row_mask:0xf bank_mask:0xf// 00000000A9E0: 0BFF1EFA FF00FFFF
	v_mov_b32_e32 v62, 0x358637bd                              // 00000000A9E8: 7E7C02FF 358637BD
	v_max3_f32 v62, |v240|, |v241|, v62                        // 00000000A9F0: D1D3033E 04FBE3F0
	v_max3_f32 v62, |v242|, |v243|, v62                        // 00000000A9F8: D1D3033E 04FBE7F2
	v_max3_f32 v62, |v244|, |v245|, v62                        // 00000000AA00: D1D3033E 04FBEBF4
	v_max3_f32 v62, |v246|, |v247|, v62                        // 00000000AA08: D1D3033E 04FBEFF6
	v_max3_f32 v62, |v248|, |v249|, v62                        // 00000000AA10: D1D3033E 04FBF3F8
	v_max3_f32 v62, |v250|, |v251|, v62                        // 00000000AA18: D1D3033E 04FBF7FA
	v_max3_f32 v62, |v252|, |v253|, v62                        // 00000000AA20: D1D3033E 04FBFBFC
	v_max3_f32 v62, |v254|, |v255|, v62                        // 00000000AA28: D1D3033E 04FBFFFE
	buffer_load_dwordx4 a[108:111], v40, s[20:23], 0 offen     // 00000000AA30: E05C1000 80856C28
	ds_write_b32 v11, v62 offset:20992                         // 00000000AA38: D81A5200 00003E0B
	v_sub_f32_e32 v63, v14, v18                                // 00000000AA40: 047E250E
	v_cndmask_b32_e64 v63, v63, 0, s[40:41]                    // 00000000AA44: D100003F 00A1013F
	v_mov_b32_e32 v14, v18                                     // 00000000AA4C: 7E1C0312
	v_mul_f32_e32 v63, s64, v63                                // 00000000AA50: 0A7E7E40
	v_exp_f32_e32 v63, v63                                     // 00000000AA54: 7E7E413F
	s_waitcnt lgkmcnt(0)                                       // 00000000AA58: BF8CC07F
	s_barrier                                                  // 00000000AA5C: BF8A0000
	ds_read_b32 v80, v10 offset:20992                          // 00000000AA60: D86C5200 5000000A
	ds_read_b32 v81, v10 offset:21056                          // 00000000AA68: D86C5240 5100000A
	ds_read_b32 v82, v10 offset:21120                          // 00000000AA70: D86C5280 5200000A
	ds_read_b32 v83, v10 offset:21184                          // 00000000AA78: D86C52C0 5300000A
	ds_read_b32 v84, v10 offset:21248                          // 00000000AA80: D86C5300 5400000A
	ds_read_b32 v85, v10 offset:21312                          // 00000000AA88: D86C5340 5500000A
	ds_read_b32 v86, v10 offset:21376                          // 00000000AA90: D86C5380 5600000A
	ds_read_b32 v87, v10 offset:21440                          // 00000000AA98: D86C53C0 5700000A
	ds_read_b32 v88, v10 offset:21504                          // 00000000AAA0: D86C5400 5800000A
	ds_read_b32 v89, v10 offset:21568                          // 00000000AAA8: D86C5440 5900000A
	ds_read_b32 v90, v10 offset:21632                          // 00000000AAB0: D86C5480 5A00000A
	ds_read_b32 v91, v10 offset:21696                          // 00000000AAB8: D86C54C0 5B00000A
	ds_read_b32 v92, v10 offset:21760                          // 00000000AAC0: D86C5500 5C00000A
	ds_read_b32 v93, v10 offset:21824                          // 00000000AAC8: D86C5540 5D00000A
	ds_read_b32 v94, v10 offset:21888                          // 00000000AAD0: D86C5580 5E00000A
	ds_read_b32 v95, v10 offset:21952                          // 00000000AAD8: D86C55C0 5F00000A
	v_mul_f32_e32 v47, v63, v47                                // 00000000AAE0: 0A5E5F3F
	v_mov_b32_e32 v18, v128                                    // 00000000AAE4: 7E240380
	v_add_f32_e32 v18, v129, v18                               // 00000000AAE8: 02242581
	v_add_f32_e32 v18, v130, v18                               // 00000000AAEC: 02242582
	v_add_f32_e32 v18, v131, v18                               // 00000000AAF0: 02242583
	v_add_f32_e32 v18, v132, v18                               // 00000000AAF4: 02242584
	v_add_f32_e32 v18, v133, v18                               // 00000000AAF8: 02242585
	v_add_f32_e32 v18, v134, v18                               // 00000000AAFC: 02242586
	v_add_f32_e32 v18, v135, v18                               // 00000000AB00: 02242587
	v_add_f32_e32 v18, v136, v18                               // 00000000AB04: 02242588
	v_add_f32_e32 v18, v137, v18                               // 00000000AB08: 02242589
	v_add_f32_e32 v18, v138, v18                               // 00000000AB0C: 0224258A
	v_add_f32_e32 v18, v139, v18                               // 00000000AB10: 0224258B
	v_add_f32_e32 v18, v140, v18                               // 00000000AB14: 0224258C
	v_add_f32_e32 v18, v141, v18                               // 00000000AB18: 0224258D
	v_add_f32_e32 v18, v142, v18                               // 00000000AB1C: 0224258E
	v_add_f32_e32 v18, v143, v18                               // 00000000AB20: 0224258F
	v_add_f32_e32 v47, v18, v47                                // 00000000AB24: 025E5F12
	s_waitcnt lgkmcnt(0)                                       // 00000000AB28: BF8CC07F
	v_max3_f32 v62, |v80|, |v81|, v62                          // 00000000AB2C: D1D3033E 04FAA350
	v_max3_f32 v62, |v82|, |v83|, v62                          // 00000000AB34: D1D3033E 04FAA752
	v_max3_f32 v62, |v84|, |v85|, v62                          // 00000000AB3C: D1D3033E 04FAAB54
	v_max3_f32 v62, |v86|, |v87|, v62                          // 00000000AB44: D1D3033E 04FAAF56
	v_max3_f32 v62, |v88|, |v89|, v62                          // 00000000AB4C: D1D3033E 04FAB358
	v_max3_f32 v62, |v90|, |v91|, v62                          // 00000000AB54: D1D3033E 04FAB75A
	v_max3_f32 v62, |v92|, |v93|, v62                          // 00000000AB5C: D1D3033E 04FABB5C
	v_max3_f32 v62, |v94|, |v95|, v62                          // 00000000AB64: D1D3033E 04FABF5E
	s_nop 2                                                    // 00000000AB6C: BF800002
	v_rcp_f32_e32 v62, v62                                     // 00000000AB70: 7E7C453E
	s_nop 1                                                    // 00000000AB74: BF800001
	v_mul_f32_e32 v62, 0x43700000, v62                         // 00000000AB78: 0A7C7CFF 43700000
	v_mul_f32_e32 v128, v62, v240                              // 00000000AB80: 0B01E13E
	v_mul_f32_e32 v129, v62, v241                              // 00000000AB84: 0B03E33E
	v_mul_f32_e32 v130, v62, v242                              // 00000000AB88: 0B05E53E
	v_mul_f32_e32 v131, v62, v243                              // 00000000AB8C: 0B07E73E
	v_mul_f32_e32 v132, v62, v244                              // 00000000AB90: 0B09E93E
	v_mul_f32_e32 v133, v62, v245                              // 00000000AB94: 0B0BEB3E
	v_mul_f32_e32 v134, v62, v246                              // 00000000AB98: 0B0DED3E
	v_mul_f32_e32 v135, v62, v247                              // 00000000AB9C: 0B0FEF3E
	v_mul_f32_e32 v136, v62, v248                              // 00000000ABA0: 0B11F13E
	v_mul_f32_e32 v137, v62, v249                              // 00000000ABA4: 0B13F33E
	v_mul_f32_e32 v138, v62, v250                              // 00000000ABA8: 0B15F53E
	v_mul_f32_e32 v139, v62, v251                              // 00000000ABAC: 0B17F73E
	v_mul_f32_e32 v140, v62, v252                              // 00000000ABB0: 0B19F93E
	v_mul_f32_e32 v141, v62, v253                              // 00000000ABB4: 0B1BFB3E
	v_mul_f32_e32 v142, v62, v254                              // 00000000ABB8: 0B1DFD3E
	v_mul_f32_e32 v143, v62, v255                              // 00000000ABBC: 0B1FFF3E
	v_cvt_pk_fp8_f32 v128, v128, v129                          // 00000000ABC0: D2A20080 00030380
	v_cvt_pk_fp8_f32 v128, v130, v131 op_sel:[0,0,1]           // 00000000ABC8: D2A24080 00030782
	v_cvt_pk_fp8_f32 v129, v132, v133                          // 00000000ABD0: D2A20081 00030B84
	v_cvt_pk_fp8_f32 v129, v134, v135 op_sel:[0,0,1]           // 00000000ABD8: D2A24081 00030F86
	v_cvt_pk_fp8_f32 v130, v136, v137                          // 00000000ABE0: D2A20082 00031388
	v_cvt_pk_fp8_f32 v130, v138, v139 op_sel:[0,0,1]           // 00000000ABE8: D2A24082 0003178A
	v_cvt_pk_fp8_f32 v131, v140, v141                          // 00000000ABF0: D2A20083 00031B8C
	v_cvt_pk_fp8_f32 v131, v142, v143 op_sel:[0,0,1]           // 00000000ABF8: D2A24083 00031F8E
	ds_write_b32 v13, v128 offset:25088                        // 00000000AC00: D81A6200 0000800D
	ds_write_b32 v13, v129 offset:26112                        // 00000000AC08: D81A6600 0000810D
	ds_write_b32 v13, v130 offset:27136                        // 00000000AC10: D81A6A00 0000820D
	ds_write_b32 v13, v131 offset:28160                        // 00000000AC18: D81A6E00 0000830D
	v_add_f32_e32 v224, v224, v192                             // 00000000AC20: 03C181E0
	v_add_f32_e32 v225, v225, v193                             // 00000000AC24: 03C383E1
	v_add_f32_e32 v226, v226, v194                             // 00000000AC28: 03C585E2
	v_add_f32_e32 v227, v227, v195                             // 00000000AC2C: 03C787E3
	v_add_f32_e32 v228, v228, v196                             // 00000000AC30: 03C989E4
	v_add_f32_e32 v229, v229, v197                             // 00000000AC34: 03CB8BE5
	v_add_f32_e32 v230, v230, v198                             // 00000000AC38: 03CD8DE6
	v_add_f32_e32 v231, v231, v199                             // 00000000AC3C: 03CF8FE7
	v_rcp_f32_e32 v58, v62                                     // 00000000AC40: 7E74453E
	s_waitcnt lgkmcnt(0)                                       // 00000000AC44: BF8CC07F
	s_barrier                                                  // 00000000AC48: BF8A0000
	ds_read_b64 v[128:129], v12 offset:25088                   // 00000000AC4C: D8EC6200 8000000C
	ds_read_b64 v[130:131], v12 offset:25216                   // 00000000AC54: D8EC6280 8200000C
	ds_read_b64 v[132:133], v12 offset:26112                   // 00000000AC5C: D8EC6600 8400000C
	ds_read_b64 v[134:135], v12 offset:26240                   // 00000000AC64: D8EC6680 8600000C
	ds_read_b64 v[136:137], v12 offset:27136                   // 00000000AC6C: D8EC6A00 8800000C
	ds_read_b64 v[138:139], v12 offset:27264                   // 00000000AC74: D8EC6A80 8A00000C
	ds_read_b64 v[140:141], v12 offset:28160                   // 00000000AC7C: D8EC6E00 8C00000C
	ds_read_b64 v[142:143], v12 offset:28288                   // 00000000AC84: D8EC6E80 8E00000C
	v_mov_b32_dpp v41, v52 row_shr:4 row_mask:0xf bank_mask:0xf// 00000000AC8C: 7E5202FA FF011434
	v_mov_b32_dpp v42, v52 row_shl:4 row_mask:0xf bank_mask:0xf// 00000000AC94: 7E5402FA FF010434
	v_cndmask_b32_e64 v248, v52, v41, s[44:45]                 // 00000000AC9C: D10000F8 00B25334
	v_cndmask_b32_e64 v249, v42, v52, s[44:45]                 // 00000000ACA4: D10000F9 00B2692A
	v_mov_b32_dpp v41, v248 row_shr:8 row_mask:0xf bank_mask:0xf// 00000000ACAC: 7E5202FA FF0118F8
	v_mov_b32_dpp v42, v248 row_shl:8 row_mask:0xf bank_mask:0xf// 00000000ACB4: 7E5402FA FF0108F8
	v_mov_b32_dpp v43, v249 row_shr:8 row_mask:0xf bank_mask:0xf// 00000000ACBC: 7E5602FA FF0118F9
	v_mov_b32_dpp v44, v249 row_shl:8 row_mask:0xf bank_mask:0xf// 00000000ACC4: 7E5802FA FF0108F9
	v_mov_b32_e32 v45, v248                                    // 00000000ACCC: 7E5A03F8
	v_mov_b32_e32 v46, v249                                    // 00000000ACD0: 7E5C03F9
	v_cndmask_b32_e64 v248, v45, v41, s[42:43]                 // 00000000ACD4: D10000F8 00AA532D
	v_cndmask_b32_e64 v250, v45, v42, s[78:79]                 // 00000000ACDC: D10000FA 013A552D
	v_cndmask_b32_e64 v249, v46, v43, s[42:43]                 // 00000000ACE4: D10000F9 00AA572E
	v_cndmask_b32_e64 v251, v46, v44, s[78:79]                 // 00000000ACEC: D10000FB 013A592E
	v_mov_b32_dpp v41, v72 row_shr:4 row_mask:0xf bank_mask:0xf// 00000000ACF4: 7E5202FA FF011448
	v_mov_b32_dpp v42, v72 row_shl:4 row_mask:0xf bank_mask:0xf// 00000000ACFC: 7E5402FA FF010448
	v_cndmask_b32_e64 v252, v72, v41, s[44:45]                 // 00000000AD04: D10000FC 00B25348
	v_cndmask_b32_e64 v253, v42, v72, s[44:45]                 // 00000000AD0C: D10000FD 00B2912A
	v_mov_b32_dpp v41, v252 row_shr:8 row_mask:0xf bank_mask:0xf// 00000000AD14: 7E5202FA FF0118FC
	v_mov_b32_dpp v42, v252 row_shl:8 row_mask:0xf bank_mask:0xf// 00000000AD1C: 7E5402FA FF0108FC
	v_mov_b32_dpp v43, v253 row_shr:8 row_mask:0xf bank_mask:0xf// 00000000AD24: 7E5602FA FF0118FD
	v_mov_b32_dpp v44, v253 row_shl:8 row_mask:0xf bank_mask:0xf// 00000000AD2C: 7E5802FA FF0108FD
	v_mov_b32_e32 v45, v252                                    // 00000000AD34: 7E5A03FC
	v_mov_b32_e32 v46, v253                                    // 00000000AD38: 7E5C03FD
	v_cndmask_b32_e64 v252, v45, v41, s[42:43]                 // 00000000AD3C: D10000FC 00AA532D
	v_cndmask_b32_e64 v254, v45, v42, s[78:79]                 // 00000000AD44: D10000FE 013A552D
	v_cndmask_b32_e64 v253, v46, v43, s[42:43]                 // 00000000AD4C: D10000FD 00AA572E
	v_cndmask_b32_e64 v255, v46, v44, s[78:79]                 // 00000000AD54: D10000FF 013A592E
	v_mul_f32_e32 v144, v55, v144                              // 00000000AD5C: 0B212137
	v_mul_f32_e32 v145, v55, v145                              // 00000000AD60: 0B232337
	v_mul_f32_e32 v146, v55, v146                              // 00000000AD64: 0B252537
	v_mul_f32_e32 v147, v55, v147                              // 00000000AD68: 0B272737
	v_mul_f32_e32 v148, v55, v148                              // 00000000AD6C: 0B292937
	v_mul_f32_e32 v149, v55, v149                              // 00000000AD70: 0B2B2B37
	v_mul_f32_e32 v150, v55, v150                              // 00000000AD74: 0B2D2D37
	v_mul_f32_e32 v151, v55, v151                              // 00000000AD78: 0B2F2F37
	v_mul_f32_e32 v152, v55, v152                              // 00000000AD7C: 0B313137
	v_mul_f32_e32 v153, v55, v153                              // 00000000AD80: 0B333337
	v_mul_f32_e32 v154, v55, v154                              // 00000000AD84: 0B353537
	v_mul_f32_e32 v155, v55, v155                              // 00000000AD88: 0B373737
	v_mul_f32_e32 v156, v55, v156                              // 00000000AD8C: 0B393937
	v_mul_f32_e32 v157, v55, v157                              // 00000000AD90: 0B3B3B37
	v_mul_f32_e32 v158, v55, v158                              // 00000000AD94: 0B3D3D37
	v_mul_f32_e32 v159, v55, v159                              // 00000000AD98: 0B3F3F37
	v_mul_f32_dpp v144, v248, v144 quad_perm:[0,0,0,0] row_mask:0xf bank_mask:0xf// 00000000AD9C: 0B2120FA FF0000F8
	v_mul_f32_dpp v145, v248, v145 quad_perm:[1,1,1,1] row_mask:0xf bank_mask:0xf// 00000000ADA4: 0B2322FA FF0055F8
	v_mul_f32_dpp v146, v248, v146 quad_perm:[2,2,2,2] row_mask:0xf bank_mask:0xf// 00000000ADAC: 0B2524FA FF00AAF8
	v_mul_f32_dpp v147, v248, v147 quad_perm:[3,3,3,3] row_mask:0xf bank_mask:0xf// 00000000ADB4: 0B2726FA FF00FFF8
	v_mul_f32_dpp v148, v249, v148 quad_perm:[0,0,0,0] row_mask:0xf bank_mask:0xf// 00000000ADBC: 0B2928FA FF0000F9
	v_mul_f32_dpp v149, v249, v149 quad_perm:[1,1,1,1] row_mask:0xf bank_mask:0xf// 00000000ADC4: 0B2B2AFA FF0055F9
	v_mul_f32_dpp v150, v249, v150 quad_perm:[2,2,2,2] row_mask:0xf bank_mask:0xf// 00000000ADCC: 0B2D2CFA FF00AAF9
	v_mul_f32_dpp v151, v249, v151 quad_perm:[3,3,3,3] row_mask:0xf bank_mask:0xf// 00000000ADD4: 0B2F2EFA FF00FFF9
	v_mul_f32_dpp v152, v250, v152 quad_perm:[0,0,0,0] row_mask:0xf bank_mask:0xf// 00000000ADDC: 0B3130FA FF0000FA
	v_mul_f32_dpp v153, v250, v153 quad_perm:[1,1,1,1] row_mask:0xf bank_mask:0xf// 00000000ADE4: 0B3332FA FF0055FA
	v_mul_f32_dpp v154, v250, v154 quad_perm:[2,2,2,2] row_mask:0xf bank_mask:0xf// 00000000ADEC: 0B3534FA FF00AAFA
	v_mul_f32_dpp v155, v250, v155 quad_perm:[3,3,3,3] row_mask:0xf bank_mask:0xf// 00000000ADF4: 0B3736FA FF00FFFA
	v_mul_f32_dpp v156, v251, v156 quad_perm:[0,0,0,0] row_mask:0xf bank_mask:0xf// 00000000ADFC: 0B3938FA FF0000FB
	v_mul_f32_dpp v157, v251, v157 quad_perm:[1,1,1,1] row_mask:0xf bank_mask:0xf// 00000000AE04: 0B3B3AFA FF0055FB
	v_mul_f32_dpp v158, v251, v158 quad_perm:[2,2,2,2] row_mask:0xf bank_mask:0xf// 00000000AE0C: 0B3D3CFA FF00AAFB
	v_mul_f32_dpp v159, v251, v159 quad_perm:[3,3,3,3] row_mask:0xf bank_mask:0xf// 00000000AE14: 0B3F3EFA FF00FFFB
	v_mov_b32_e32 v62, v144                                    // 00000000AE1C: 7E7C0390
	v_max3_f32 v62, v144, v145, v62                            // 00000000AE20: D1D3003E 04FB2390
	v_max3_f32 v62, v146, v147, v62                            // 00000000AE28: D1D3003E 04FB2792
	v_max3_f32 v62, v148, v149, v62                            // 00000000AE30: D1D3003E 04FB2B94
	v_max3_f32 v62, v150, v151, v62                            // 00000000AE38: D1D3003E 04FB2F96
	v_max3_f32 v62, v152, v153, v62                            // 00000000AE40: D1D3003E 04FB3398
	v_max3_f32 v62, v154, v155, v62                            // 00000000AE48: D1D3003E 04FB379A
	v_max3_f32 v62, v156, v157, v62                            // 00000000AE50: D1D3003E 04FB3B9C
	v_max3_f32 v62, v158, v159, v62                            // 00000000AE58: D1D3003E 04FB3F9E
	ds_write_b32 v11, v62 offset:16896                         // 00000000AE60: D81A4200 00003E0B
	v_mul_f32_e32 v232, v64, v232                              // 00000000AE68: 0BD1D140
	v_mul_f32_e32 v233, v64, v233                              // 00000000AE6C: 0BD3D340
	v_mul_f32_e32 v234, v64, v234                              // 00000000AE70: 0BD5D540
	v_mul_f32_e32 v235, v64, v235                              // 00000000AE74: 0BD7D740
	v_mul_f32_e32 v236, v64, v236                              // 00000000AE78: 0BD9D940
	v_mul_f32_e32 v237, v64, v237                              // 00000000AE7C: 0BDBDB40
	v_mul_f32_e32 v238, v64, v238                              // 00000000AE80: 0BDDDD40
	v_mul_f32_e32 v239, v64, v239                              // 00000000AE84: 0BDFDF40
	s_waitcnt lgkmcnt(0)                                       // 00000000AE88: BF8CC07F
	s_barrier                                                  // 00000000AE8C: BF8A0000
	ds_read_b32 v80, v10 offset:16896                          // 00000000AE90: D86C4200 5000000A
	ds_read_b32 v81, v10 offset:16960                          // 00000000AE98: D86C4240 5100000A
	ds_read_b32 v82, v10 offset:17024                          // 00000000AEA0: D86C4280 5200000A
	ds_read_b32 v83, v10 offset:17088                          // 00000000AEA8: D86C42C0 5300000A
	ds_read_b32 v84, v10 offset:17152                          // 00000000AEB0: D86C4300 5400000A
	ds_read_b32 v85, v10 offset:17216                          // 00000000AEB8: D86C4340 5500000A
	ds_read_b32 v86, v10 offset:17280                          // 00000000AEC0: D86C4380 5600000A
	ds_read_b32 v87, v10 offset:17344                          // 00000000AEC8: D86C43C0 5700000A
	ds_read_b32 v88, v10 offset:17408                          // 00000000AED0: D86C4400 5800000A
	ds_read_b32 v89, v10 offset:17472                          // 00000000AED8: D86C4440 5900000A
	ds_read_b32 v90, v10 offset:17536                          // 00000000AEE0: D86C4480 5A00000A
	ds_read_b32 v91, v10 offset:17600                          // 00000000AEE8: D86C44C0 5B00000A
	ds_read_b32 v92, v10 offset:17664                          // 00000000AEF0: D86C4500 5C00000A
	ds_read_b32 v93, v10 offset:17728                          // 00000000AEF8: D86C4540 5D00000A
	ds_read_b32 v94, v10 offset:17792                          // 00000000AF00: D86C4580 5E00000A
	ds_read_b32 v95, v10 offset:17856                          // 00000000AF08: D86C45C0 5F00000A
	v_mul_f32_e32 v200, v59, v200                              // 00000000AF10: 0B91913B
	v_mul_f32_e32 v201, v59, v201                              // 00000000AF14: 0B93933B
	v_mul_f32_e32 v202, v59, v202                              // 00000000AF18: 0B95953B
	v_mul_f32_e32 v203, v59, v203                              // 00000000AF1C: 0B97973B
	v_mul_f32_e32 v204, v59, v204                              // 00000000AF20: 0B99993B
	v_mul_f32_e32 v205, v59, v205                              // 00000000AF24: 0B9B9B3B
	v_mul_f32_e32 v206, v59, v206                              // 00000000AF28: 0B9D9D3B
	v_mul_f32_e32 v207, v59, v207                              // 00000000AF2C: 0B9F9F3B
	s_waitcnt lgkmcnt(0)                                       // 00000000AF30: BF8CC07F
	v_max3_f32 v62, v80, v81, v62                              // 00000000AF34: D1D3003E 04FAA350
	v_max3_f32 v62, v82, v83, v62                              // 00000000AF3C: D1D3003E 04FAA752
	v_max3_f32 v62, v84, v85, v62                              // 00000000AF44: D1D3003E 04FAAB54
	v_max3_f32 v62, v86, v87, v62                              // 00000000AF4C: D1D3003E 04FAAF56
	v_max3_f32 v62, v88, v89, v62                              // 00000000AF54: D1D3003E 04FAB358
	v_max3_f32 v62, v90, v91, v62                              // 00000000AF5C: D1D3003E 04FAB75A
	v_max3_f32 v62, v92, v93, v62                              // 00000000AF64: D1D3003E 04FABB5C
	v_max3_f32 v62, v94, v95, v62                              // 00000000AF6C: D1D3003E 04FABF5E
	v_mov_b32_e32 v41, 0xff800000                              // 00000000AF74: 7E5202FF FF800000
	v_cmp_eq_u32_e64 s[40:41], v41, v15                        // 00000000AF7C: D0CA0028 00021F29
	s_nop 1                                                    // 00000000AF84: BF800001
	v_max_f32_e32 v18, v62, v15                                // 00000000AF88: 16241F3E
	v_mul_f32_e32 v67, s64, v18                                // 00000000AF8C: 0A862440
	v_fma_f32 v144, v144, s64, -v67                            // 00000000AF90: D1CB0090 850C8190
	v_fma_f32 v145, v145, s64, -v67                            // 00000000AF98: D1CB0091 850C8191
	v_fma_f32 v146, v146, s64, -v67                            // 00000000AFA0: D1CB0092 850C8192
	v_fma_f32 v147, v147, s64, -v67                            // 00000000AFA8: D1CB0093 850C8193
	v_fma_f32 v148, v148, s64, -v67                            // 00000000AFB0: D1CB0094 850C8194
	v_fma_f32 v149, v149, s64, -v67                            // 00000000AFB8: D1CB0095 850C8195
	v_fma_f32 v150, v150, s64, -v67                            // 00000000AFC0: D1CB0096 850C8196
	v_fma_f32 v151, v151, s64, -v67                            // 00000000AFC8: D1CB0097 850C8197
	v_fma_f32 v152, v152, s64, -v67                            // 00000000AFD0: D1CB0098 850C8198
	v_fma_f32 v153, v153, s64, -v67                            // 00000000AFD8: D1CB0099 850C8199
	v_fma_f32 v154, v154, s64, -v67                            // 00000000AFE0: D1CB009A 850C819A
	v_fma_f32 v155, v155, s64, -v67                            // 00000000AFE8: D1CB009B 850C819B
	v_fma_f32 v156, v156, s64, -v67                            // 00000000AFF0: D1CB009C 850C819C
	v_fma_f32 v157, v157, s64, -v67                            // 00000000AFF8: D1CB009D 850C819D
	v_fma_f32 v158, v158, s64, -v67                            // 00000000B000: D1CB009E 850C819E
	v_fma_f32 v159, v159, s64, -v67                            // 00000000B008: D1CB009F 850C819F
	v_exp_f32_e32 v144, v144                                   // 00000000B010: 7F204190
	v_exp_f32_e32 v145, v145                                   // 00000000B014: 7F224191
	v_exp_f32_e32 v146, v146                                   // 00000000B018: 7F244192
	v_exp_f32_e32 v147, v147                                   // 00000000B01C: 7F264193
	v_exp_f32_e32 v148, v148                                   // 00000000B020: 7F284194
	v_exp_f32_e32 v149, v149                                   // 00000000B024: 7F2A4195
	v_exp_f32_e32 v150, v150                                   // 00000000B028: 7F2C4196
	v_exp_f32_e32 v151, v151                                   // 00000000B02C: 7F2E4197
	v_exp_f32_e32 v152, v152                                   // 00000000B030: 7F304198
	v_exp_f32_e32 v153, v153                                   // 00000000B034: 7F324199
	v_exp_f32_e32 v154, v154                                   // 00000000B038: 7F34419A
	v_exp_f32_e32 v155, v155                                   // 00000000B03C: 7F36419B
	v_exp_f32_e32 v156, v156                                   // 00000000B040: 7F38419C
	v_exp_f32_e32 v157, v157                                   // 00000000B044: 7F3A419D
	v_exp_f32_e32 v158, v158                                   // 00000000B048: 7F3C419E
	v_exp_f32_e32 v159, v159                                   // 00000000B04C: 7F3E419F
	v_mul_f32_dpp v240, v252, v144 quad_perm:[0,0,0,0] row_mask:0xf bank_mask:0xf// 00000000B050: 0BE120FA FF0000FC
	v_mul_f32_dpp v241, v252, v145 quad_perm:[1,1,1,1] row_mask:0xf bank_mask:0xf// 00000000B058: 0BE322FA FF0055FC
	v_mul_f32_dpp v242, v252, v146 quad_perm:[2,2,2,2] row_mask:0xf bank_mask:0xf// 00000000B060: 0BE524FA FF00AAFC
	v_mul_f32_dpp v243, v252, v147 quad_perm:[3,3,3,3] row_mask:0xf bank_mask:0xf// 00000000B068: 0BE726FA FF00FFFC
	v_mul_f32_dpp v244, v253, v148 quad_perm:[0,0,0,0] row_mask:0xf bank_mask:0xf// 00000000B070: 0BE928FA FF0000FD
	v_mul_f32_dpp v245, v253, v149 quad_perm:[1,1,1,1] row_mask:0xf bank_mask:0xf// 00000000B078: 0BEB2AFA FF0055FD
	v_mul_f32_dpp v246, v253, v150 quad_perm:[2,2,2,2] row_mask:0xf bank_mask:0xf// 00000000B080: 0BED2CFA FF00AAFD
	v_mul_f32_dpp v247, v253, v151 quad_perm:[3,3,3,3] row_mask:0xf bank_mask:0xf// 00000000B088: 0BEF2EFA FF00FFFD
	v_mul_f32_dpp v248, v254, v152 quad_perm:[0,0,0,0] row_mask:0xf bank_mask:0xf// 00000000B090: 0BF130FA FF0000FE
	v_mul_f32_dpp v249, v254, v153 quad_perm:[1,1,1,1] row_mask:0xf bank_mask:0xf// 00000000B098: 0BF332FA FF0055FE
	v_mul_f32_dpp v250, v254, v154 quad_perm:[2,2,2,2] row_mask:0xf bank_mask:0xf// 00000000B0A0: 0BF534FA FF00AAFE
	v_mul_f32_dpp v251, v254, v155 quad_perm:[3,3,3,3] row_mask:0xf bank_mask:0xf// 00000000B0A8: 0BF736FA FF00FFFE
	v_mul_f32_dpp v252, v255, v156 quad_perm:[0,0,0,0] row_mask:0xf bank_mask:0xf// 00000000B0B0: 0BF938FA FF0000FF
	v_mul_f32_dpp v253, v255, v157 quad_perm:[1,1,1,1] row_mask:0xf bank_mask:0xf// 00000000B0B8: 0BFB3AFA FF0055FF
	v_mul_f32_dpp v254, v255, v158 quad_perm:[2,2,2,2] row_mask:0xf bank_mask:0xf// 00000000B0C0: 0BFD3CFA FF00AAFF
	v_mul_f32_dpp v255, v255, v159 quad_perm:[3,3,3,3] row_mask:0xf bank_mask:0xf// 00000000B0C8: 0BFF3EFA FF00FFFF
	v_mov_b32_e32 v62, 0x358637bd                              // 00000000B0D0: 7E7C02FF 358637BD
	v_max3_f32 v62, |v240|, |v241|, v62                        // 00000000B0D8: D1D3033E 04FBE3F0
	v_max3_f32 v62, |v242|, |v243|, v62                        // 00000000B0E0: D1D3033E 04FBE7F2
	v_max3_f32 v62, |v244|, |v245|, v62                        // 00000000B0E8: D1D3033E 04FBEBF4
	v_max3_f32 v62, |v246|, |v247|, v62                        // 00000000B0F0: D1D3033E 04FBEFF6
	v_max3_f32 v62, |v248|, |v249|, v62                        // 00000000B0F8: D1D3033E 04FBF3F8
	v_max3_f32 v62, |v250|, |v251|, v62                        // 00000000B100: D1D3033E 04FBF7FA
	v_max3_f32 v62, |v252|, |v253|, v62                        // 00000000B108: D1D3033E 04FBFBFC
	v_max3_f32 v62, |v254|, |v255|, v62                        // 00000000B110: D1D3033E 04FBFFFE
	ds_write_b32 v11, v62 offset:20992                         // 00000000B118: D81A5200 00003E0B
	v_sub_f32_e32 v64, v15, v18                                // 00000000B120: 0480250F
	v_cndmask_b32_e64 v64, v64, 0, s[40:41]                    // 00000000B124: D1000040 00A10140
	v_mov_b32_e32 v15, v18                                     // 00000000B12C: 7E1E0312
	v_mul_f32_e32 v64, s64, v64                                // 00000000B130: 0A808040
	v_exp_f32_e32 v64, v64                                     // 00000000B134: 7E804140
	s_waitcnt lgkmcnt(0)                                       // 00000000B138: BF8CC07F
	s_barrier                                                  // 00000000B13C: BF8A0000
	ds_read_b32 v80, v10 offset:20992                          // 00000000B140: D86C5200 5000000A
	ds_read_b32 v81, v10 offset:21056                          // 00000000B148: D86C5240 5100000A
	ds_read_b32 v82, v10 offset:21120                          // 00000000B150: D86C5280 5200000A
	ds_read_b32 v83, v10 offset:21184                          // 00000000B158: D86C52C0 5300000A
	ds_read_b32 v84, v10 offset:21248                          // 00000000B160: D86C5300 5400000A
	ds_read_b32 v85, v10 offset:21312                          // 00000000B168: D86C5340 5500000A
	ds_read_b32 v86, v10 offset:21376                          // 00000000B170: D86C5380 5600000A
	ds_read_b32 v87, v10 offset:21440                          // 00000000B178: D86C53C0 5700000A
	ds_read_b32 v88, v10 offset:21504                          // 00000000B180: D86C5400 5800000A
	ds_read_b32 v89, v10 offset:21568                          // 00000000B188: D86C5440 5900000A
	ds_read_b32 v90, v10 offset:21632                          // 00000000B190: D86C5480 5A00000A
	ds_read_b32 v91, v10 offset:21696                          // 00000000B198: D86C54C0 5B00000A
	ds_read_b32 v92, v10 offset:21760                          // 00000000B1A0: D86C5500 5C00000A
	ds_read_b32 v93, v10 offset:21824                          // 00000000B1A8: D86C5540 5D00000A
	ds_read_b32 v94, v10 offset:21888                          // 00000000B1B0: D86C5580 5E00000A
	ds_read_b32 v95, v10 offset:21952                          // 00000000B1B8: D86C55C0 5F00000A
	v_mul_f32_e32 v48, v64, v48                                // 00000000B1C0: 0A606140
	v_mov_b32_e32 v18, v144                                    // 00000000B1C4: 7E240390
	v_add_f32_e32 v18, v145, v18                               // 00000000B1C8: 02242591
	v_add_f32_e32 v18, v146, v18                               // 00000000B1CC: 02242592
	v_add_f32_e32 v18, v147, v18                               // 00000000B1D0: 02242593
	v_add_f32_e32 v18, v148, v18                               // 00000000B1D4: 02242594
	v_add_f32_e32 v18, v149, v18                               // 00000000B1D8: 02242595
	v_add_f32_e32 v18, v150, v18                               // 00000000B1DC: 02242596
	v_add_f32_e32 v18, v151, v18                               // 00000000B1E0: 02242597
	v_add_f32_e32 v18, v152, v18                               // 00000000B1E4: 02242598
	v_add_f32_e32 v18, v153, v18                               // 00000000B1E8: 02242599
	v_add_f32_e32 v18, v154, v18                               // 00000000B1EC: 0224259A
	v_add_f32_e32 v18, v155, v18                               // 00000000B1F0: 0224259B
	v_add_f32_e32 v18, v156, v18                               // 00000000B1F4: 0224259C
	v_add_f32_e32 v18, v157, v18                               // 00000000B1F8: 0224259D
	v_add_f32_e32 v18, v158, v18                               // 00000000B1FC: 0224259E
	v_add_f32_e32 v18, v159, v18                               // 00000000B200: 0224259F
	v_add_f32_e32 v48, v18, v48                                // 00000000B204: 02606112
	s_waitcnt lgkmcnt(0)                                       // 00000000B208: BF8CC07F
	v_max3_f32 v62, |v80|, |v81|, v62                          // 00000000B20C: D1D3033E 04FAA350
	v_max3_f32 v62, |v82|, |v83|, v62                          // 00000000B214: D1D3033E 04FAA752
	v_max3_f32 v62, |v84|, |v85|, v62                          // 00000000B21C: D1D3033E 04FAAB54
	v_max3_f32 v62, |v86|, |v87|, v62                          // 00000000B224: D1D3033E 04FAAF56
	v_max3_f32 v62, |v88|, |v89|, v62                          // 00000000B22C: D1D3033E 04FAB358
	v_max3_f32 v62, |v90|, |v91|, v62                          // 00000000B234: D1D3033E 04FAB75A
	v_max3_f32 v62, |v92|, |v93|, v62                          // 00000000B23C: D1D3033E 04FABB5C
	v_max3_f32 v62, |v94|, |v95|, v62                          // 00000000B244: D1D3033E 04FABF5E
	s_nop 2                                                    // 00000000B24C: BF800002
	v_rcp_f32_e32 v62, v62                                     // 00000000B250: 7E7C453E
	s_nop 1                                                    // 00000000B254: BF800001
	v_mul_f32_e32 v62, 0x43700000, v62                         // 00000000B258: 0A7C7CFF 43700000
	v_mul_f32_e32 v144, v62, v240                              // 00000000B260: 0B21E13E
	v_mul_f32_e32 v145, v62, v241                              // 00000000B264: 0B23E33E
	v_mul_f32_e32 v146, v62, v242                              // 00000000B268: 0B25E53E
	v_mul_f32_e32 v147, v62, v243                              // 00000000B26C: 0B27E73E
	v_mul_f32_e32 v148, v62, v244                              // 00000000B270: 0B29E93E
	v_mul_f32_e32 v149, v62, v245                              // 00000000B274: 0B2BEB3E
	v_mul_f32_e32 v150, v62, v246                              // 00000000B278: 0B2DED3E
	v_mul_f32_e32 v151, v62, v247                              // 00000000B27C: 0B2FEF3E
	v_mul_f32_e32 v152, v62, v248                              // 00000000B280: 0B31F13E
	v_mul_f32_e32 v153, v62, v249                              // 00000000B284: 0B33F33E
	v_mul_f32_e32 v154, v62, v250                              // 00000000B288: 0B35F53E
	v_mul_f32_e32 v155, v62, v251                              // 00000000B28C: 0B37F73E
	v_mul_f32_e32 v156, v62, v252                              // 00000000B290: 0B39F93E
	v_mul_f32_e32 v157, v62, v253                              // 00000000B294: 0B3BFB3E
	v_mul_f32_e32 v158, v62, v254                              // 00000000B298: 0B3DFD3E
	v_mul_f32_e32 v159, v62, v255                              // 00000000B29C: 0B3FFF3E
	v_cvt_pk_fp8_f32 v144, v144, v145                          // 00000000B2A0: D2A20090 00032390
	v_cvt_pk_fp8_f32 v144, v146, v147 op_sel:[0,0,1]           // 00000000B2A8: D2A24090 00032792
	v_cvt_pk_fp8_f32 v145, v148, v149                          // 00000000B2B0: D2A20091 00032B94
	v_cvt_pk_fp8_f32 v145, v150, v151 op_sel:[0,0,1]           // 00000000B2B8: D2A24091 00032F96
	v_cvt_pk_fp8_f32 v146, v152, v153                          // 00000000B2C0: D2A20092 00033398
	v_cvt_pk_fp8_f32 v146, v154, v155 op_sel:[0,0,1]           // 00000000B2C8: D2A24092 0003379A
	v_cvt_pk_fp8_f32 v147, v156, v157                          // 00000000B2D0: D2A20093 00033B9C
	v_cvt_pk_fp8_f32 v147, v158, v159 op_sel:[0,0,1]           // 00000000B2D8: D2A24093 00033F9E
	ds_write_b32 v13, v144 offset:29184                        // 00000000B2E0: D81A7200 0000900D
	ds_write_b32 v13, v145 offset:30208                        // 00000000B2E8: D81A7600 0000910D
	ds_write_b32 v13, v146 offset:31232                        // 00000000B2F0: D81A7A00 0000920D
	ds_write_b32 v13, v147 offset:32256                        // 00000000B2F8: D81A7E00 0000930D
	v_add_f32_e32 v232, v232, v200                             // 00000000B300: 03D191E8
	v_add_f32_e32 v233, v233, v201                             // 00000000B304: 03D393E9
	v_add_f32_e32 v234, v234, v202                             // 00000000B308: 03D595EA
	v_add_f32_e32 v235, v235, v203                             // 00000000B30C: 03D797EB
	v_add_f32_e32 v236, v236, v204                             // 00000000B310: 03D999EC
	v_add_f32_e32 v237, v237, v205                             // 00000000B314: 03DB9BED
	v_add_f32_e32 v238, v238, v206                             // 00000000B318: 03DD9DEE
	v_add_f32_e32 v239, v239, v207                             // 00000000B31C: 03DF9FEF
	v_rcp_f32_e32 v59, v62                                     // 00000000B320: 7E76453E
	s_waitcnt lgkmcnt(0)                                       // 00000000B324: BF8CC07F
	s_barrier                                                  // 00000000B328: BF8A0000
	ds_read_b64 v[144:145], v12 offset:29184                   // 00000000B32C: D8EC7200 9000000C
	ds_read_b64 v[146:147], v12 offset:29312                   // 00000000B334: D8EC7280 9200000C
	ds_read_b64 v[148:149], v12 offset:30208                   // 00000000B33C: D8EC7600 9400000C
	ds_read_b64 v[150:151], v12 offset:30336                   // 00000000B344: D8EC7680 9600000C
	ds_read_b64 v[152:153], v12 offset:31232                   // 00000000B34C: D8EC7A00 9800000C
	ds_read_b64 v[154:155], v12 offset:31360                   // 00000000B354: D8EC7A80 9A00000C
	ds_read_b64 v[156:157], v12 offset:32256                   // 00000000B35C: D8EC7E00 9C00000C
	ds_read_b64 v[158:159], v12 offset:32384                   // 00000000B364: D8EC7E80 9E00000C
	s_waitcnt vmcnt(15)                                        // 00000000B36C: BF8C0F7F
	v_mfma_f32_16x16x32_fp8_fp8 v[192:195], a[64:65], v[128:129], 0// 00000000B370: D3F300C0 0A030140
	v_mfma_f32_16x16x32_fp8_fp8 v[192:195], a[66:67], v[130:131], v[192:195]// 00000000B378: D3F300C0 0F030542
	buffer_load_dwordx4 a[112:115], v37, s[20:23], 0 offen offset:1024// 00000000B380: E05C1400 80857025
	v_mfma_f32_16x16x32_fp8_fp8 v[192:195], a[68:69], v[132:133], v[192:195]// 00000000B388: D3F300C0 0F030944
	v_mfma_f32_16x16x32_fp8_fp8 v[192:195], a[70:71], v[134:135], v[192:195]// 00000000B390: D3F300C0 0F030D46
	v_mfma_f32_16x16x32_fp8_fp8 v[192:195], a[72:73], v[136:137], v[192:195]// 00000000B398: D3F300C0 0F031148
	v_mfma_f32_16x16x32_fp8_fp8 v[192:195], a[74:75], v[138:139], v[192:195]// 00000000B3A0: D3F300C0 0F03154A
	buffer_load_dwordx4 a[116:119], v38, s[20:23], 0 offen offset:1024// 00000000B3A8: E05C1400 80857426
	v_mfma_f32_16x16x32_fp8_fp8 v[192:195], a[76:77], v[140:141], v[192:195]// 00000000B3B0: D3F300C0 0F03194C
	v_mfma_f32_16x16x32_fp8_fp8 v[192:195], a[78:79], v[142:143], v[192:195]// 00000000B3B8: D3F300C0 0F031D4E
	v_mfma_f32_16x16x32_fp8_fp8 v[196:199], a[80:81], v[128:129], 0// 00000000B3C0: D3F300C4 0A030150
	v_mfma_f32_16x16x32_fp8_fp8 v[196:199], a[82:83], v[130:131], v[196:199]// 00000000B3C8: D3F300C4 0F130552
	buffer_load_dwordx4 a[120:123], v39, s[20:23], 0 offen offset:1024// 00000000B3D0: E05C1400 80857827
	v_mfma_f32_16x16x32_fp8_fp8 v[196:199], a[84:85], v[132:133], v[196:199]// 00000000B3D8: D3F300C4 0F130954
	v_mfma_f32_16x16x32_fp8_fp8 v[196:199], a[86:87], v[134:135], v[196:199]// 00000000B3E0: D3F300C4 0F130D56
	v_mfma_f32_16x16x32_fp8_fp8 v[196:199], a[88:89], v[136:137], v[196:199]// 00000000B3E8: D3F300C4 0F131158
	v_mfma_f32_16x16x32_fp8_fp8 v[196:199], a[90:91], v[138:139], v[196:199]// 00000000B3F0: D3F300C4 0F13155A
	buffer_load_dwordx4 a[124:127], v40, s[20:23], 0 offen offset:1024// 00000000B3F8: E05C1400 80857C28
	v_mfma_f32_16x16x32_fp8_fp8 v[196:199], a[92:93], v[140:141], v[196:199]// 00000000B400: D3F300C4 0F13195C
	s_lshr_b32 s57, s70, 4                                     // 00000000B408: 8F398446
	s_add_u32 s57, 48, s57                                     // 00000000B40C: 803939B0
	v_mfma_f32_16x16x32_fp8_fp8 v[196:199], a[94:95], v[142:143], v[196:199]// 00000000B410: D3F300C4 0F131D5E
	s_cmp_ge_u32 s57, s73                                      // 00000000B418: BF094939
	s_cselect_b32 s56, 0, s56                                  // 00000000B41C: 85383880
	v_mfma_f32_16x16x32_fp8_fp8 v[200:203], a[64:65], v[144:145], 0// 00000000B420: D3F300C8 0A032140
	v_mfma_f32_16x16x32_fp8_fp8 v[200:203], a[66:67], v[146:147], v[200:203]// 00000000B428: D3F300C8 0F232542
	v_mfma_f32_16x16x32_fp8_fp8 v[200:203], a[68:69], v[148:149], v[200:203]// 00000000B430: D3F300C8 0F232944
	v_mfma_f32_16x16x32_fp8_fp8 v[200:203], a[70:71], v[150:151], v[200:203]// 00000000B438: D3F300C8 0F232D46
	v_mfma_f32_16x16x32_fp8_fp8 v[200:203], a[72:73], v[152:153], v[200:203]// 00000000B440: D3F300C8 0F233148
	v_mfma_f32_16x16x32_fp8_fp8 v[200:203], a[74:75], v[154:155], v[200:203]// 00000000B448: D3F300C8 0F23354A
	v_mfma_f32_16x16x32_fp8_fp8 v[200:203], a[76:77], v[156:157], v[200:203]// 00000000B450: D3F300C8 0F23394C
	v_mfma_f32_16x16x32_fp8_fp8 v[200:203], a[78:79], v[158:159], v[200:203]// 00000000B458: D3F300C8 0F233D4E
	v_mfma_f32_16x16x32_fp8_fp8 v[204:207], a[80:81], v[144:145], 0// 00000000B460: D3F300CC 0A032150
	v_mfma_f32_16x16x32_fp8_fp8 v[204:207], a[82:83], v[146:147], v[204:207]// 00000000B468: D3F300CC 0F332552
	v_mfma_f32_16x16x32_fp8_fp8 v[204:207], a[84:85], v[148:149], v[204:207]// 00000000B470: D3F300CC 0F332954
	v_mfma_f32_16x16x32_fp8_fp8 v[204:207], a[86:87], v[150:151], v[204:207]// 00000000B478: D3F300CC 0F332D56
	v_mfma_f32_16x16x32_fp8_fp8 v[204:207], a[88:89], v[152:153], v[204:207]// 00000000B480: D3F300CC 0F333158
	v_mfma_f32_16x16x32_fp8_fp8 v[204:207], a[90:91], v[154:155], v[204:207]// 00000000B488: D3F300CC 0F33355A
	v_mfma_f32_16x16x32_fp8_fp8 v[204:207], a[92:93], v[156:157], v[204:207]// 00000000B490: D3F300CC 0F33395C
	v_mfma_f32_16x16x32_fp8_fp8 v[204:207], a[94:95], v[158:159], v[204:207]// 00000000B498: D3F300CC 0F333D5E
	v_add_u32_e32 v1, s56, v1                                  // 00000000B4A0: 68020238
	s_addk_i32 s70, 0x100                                      // 00000000B4A4: B7460100
	s_cmp_lt_i32 s70, s71                                      // 00000000B4A8: BF044746
	s_cbranch_scc0 label_28EB                                  // 00000000B4AC: BF84043F
	s_waitcnt vmcnt(8) lgkmcnt(0)                              // 00000000B4B0: BF8C0078
	v_mul_u32_u24_dpp v41, v19, v68 row_newbcast:0 row_mask:0xf bank_mask:0xf// 00000000B4B4: 105288FA FF015013
	v_mul_u32_u24_dpp v42, v19, v68 row_newbcast:4 row_mask:0xf bank_mask:0xf// 00000000B4BC: 105488FA FF015413
	v_mul_u32_u24_dpp v43, v19, v68 row_newbcast:8 row_mask:0xf bank_mask:0xf// 00000000B4C4: 105688FA FF015813
	v_mul_u32_u24_dpp v44, v19, v68 row_newbcast:12 row_mask:0xf bank_mask:0xf// 00000000B4CC: 105888FA FF015C13
	v_add_u32_e32 v25, v41, v6                                 // 00000000B4D4: 68320D29
	v_add_u32_e32 v26, v42, v6                                 // 00000000B4D8: 68340D2A
	v_add_u32_e32 v27, v43, v6                                 // 00000000B4DC: 68360D2B
	v_add_u32_e32 v28, v44, v6                                 // 00000000B4E0: 68380D2C
	v_mul_u32_u24_dpp v41, v19, v78 quad_perm:[0,0,0,0] row_mask:0xf bank_mask:0xf// 00000000B4E4: 10529CFA FF000013
	v_add_u32_e32 v2, v41, v74                                 // 00000000B4EC: 68049529
	v_mul_u32_u24_dpp v41, v19, v78 quad_perm:[0,0,0,0] row_mask:0xf bank_mask:0xf// 00000000B4F0: 10529CFA FF000013
	v_add_u32_e32 v70, v41, v75                                // 00000000B4F8: 688C9729
	v_mfma_f32_16x16x32_fp8_fp8 v[128:131], a[32:33], v[96:97], 0// 00000000B4FC: D3F30080 0A02C120
	v_mfma_f32_16x16x32_fp8_fp8 v[128:131], a[34:35], v[98:99], v[128:131]// 00000000B504: D3F30080 0E02C522
	buffer_load_dwordx4 a[0:3], v25, s[16:19], 0 offen         // 00000000B50C: E05C1000 80840019
	v_mfma_f32_16x16x32_fp8_fp8 v[128:131], a[36:37], v[100:101], v[128:131]// 00000000B514: D3F30080 0E02C924
	v_mfma_f32_16x16x32_fp8_fp8 v[128:131], a[38:39], v[102:103], v[128:131]// 00000000B51C: D3F30080 0E02CD26
	buffer_load_dword v20, v1, s[24:27], 0 offen               // 00000000B524: E0501000 80061401
	v_mfma_f32_16x16x32_fp8_fp8 v[132:135], a[40:41], v[96:97], 0// 00000000B52C: D3F30084 0A02C128
	v_mfma_f32_16x16x32_fp8_fp8 v[132:135], a[42:43], v[98:99], v[132:135]// 00000000B534: D3F30084 0E12C52A
	buffer_load_dwordx4 a[4:7], v25, s[16:19], 0 offen offset:1024// 00000000B53C: E05C1400 80840419
	v_mfma_f32_16x16x32_fp8_fp8 v[132:135], a[44:45], v[100:101], v[132:135]// 00000000B544: D3F30084 0E12C92C
	v_mfma_f32_16x16x32_fp8_fp8 v[132:135], a[46:47], v[102:103], v[132:135]// 00000000B54C: D3F30084 0E12CD2E
	v_mfma_f32_16x16x32_fp8_fp8 v[136:139], a[48:49], v[96:97], 0// 00000000B554: D3F30088 0A02C130
	v_mfma_f32_16x16x32_fp8_fp8 v[136:139], a[50:51], v[98:99], v[136:139]// 00000000B55C: D3F30088 0E22C532
	buffer_load_dwordx4 a[8:11], v26, s[16:19], 0 offen        // 00000000B564: E05C1000 8084081A
	v_mfma_f32_16x16x32_fp8_fp8 v[136:139], a[52:53], v[100:101], v[136:139]// 00000000B56C: D3F30088 0E22C934
	v_mfma_f32_16x16x32_fp8_fp8 v[136:139], a[54:55], v[102:103], v[136:139]// 00000000B574: D3F30088 0E22CD36
	v_mfma_f32_16x16x32_fp8_fp8 v[140:143], a[56:57], v[96:97], 0// 00000000B57C: D3F3008C 0A02C138
	v_mfma_f32_16x16x32_fp8_fp8 v[140:143], a[58:59], v[98:99], v[140:143]// 00000000B584: D3F3008C 0E32C53A
	buffer_load_dwordx4 a[12:15], v26, s[16:19], 0 offen offset:1024// 00000000B58C: E05C1400 80840C1A
	v_mfma_f32_16x16x32_fp8_fp8 v[140:143], a[60:61], v[100:101], v[140:143]// 00000000B594: D3F3008C 0E32C93C
	v_mfma_f32_16x16x32_fp8_fp8 v[140:143], a[62:63], v[102:103], v[140:143]// 00000000B59C: D3F3008C 0E32CD3E
	v_mfma_f32_16x16x32_fp8_fp8 v[144:147], a[32:33], v[104:105], 0// 00000000B5A4: D3F30090 0A02D120
	v_mfma_f32_16x16x32_fp8_fp8 v[144:147], a[34:35], v[106:107], v[144:147]// 00000000B5AC: D3F30090 0E42D522
	v_mfma_f32_16x16x32_fp8_fp8 v[144:147], a[36:37], v[108:109], v[144:147]// 00000000B5B4: D3F30090 0E42D924
	v_mfma_f32_16x16x32_fp8_fp8 v[144:147], a[38:39], v[110:111], v[144:147]// 00000000B5BC: D3F30090 0E42DD26
	v_mfma_f32_16x16x32_fp8_fp8 v[148:151], a[40:41], v[104:105], 0// 00000000B5C4: D3F30094 0A02D128
	v_mfma_f32_16x16x32_fp8_fp8 v[148:151], a[42:43], v[106:107], v[148:151]// 00000000B5CC: D3F30094 0E52D52A
	v_mfma_f32_16x16x32_fp8_fp8 v[148:151], a[44:45], v[108:109], v[148:151]// 00000000B5D4: D3F30094 0E52D92C
	v_mfma_f32_16x16x32_fp8_fp8 v[148:151], a[46:47], v[110:111], v[148:151]// 00000000B5DC: D3F30094 0E52DD2E
	v_mfma_f32_16x16x32_fp8_fp8 v[152:155], a[48:49], v[104:105], 0// 00000000B5E4: D3F30098 0A02D130
	v_mfma_f32_16x16x32_fp8_fp8 v[152:155], a[50:51], v[106:107], v[152:155]// 00000000B5EC: D3F30098 0E62D532
	v_mfma_f32_16x16x32_fp8_fp8 v[152:155], a[52:53], v[108:109], v[152:155]// 00000000B5F4: D3F30098 0E62D934
	v_mfma_f32_16x16x32_fp8_fp8 v[152:155], a[54:55], v[110:111], v[152:155]// 00000000B5FC: D3F30098 0E62DD36
	v_mfma_f32_16x16x32_fp8_fp8 v[156:159], a[56:57], v[104:105], 0// 00000000B604: D3F3009C 0A02D138
	v_mfma_f32_16x16x32_fp8_fp8 v[156:159], a[58:59], v[106:107], v[156:159]// 00000000B60C: D3F3009C 0E72D53A
	v_mfma_f32_16x16x32_fp8_fp8 v[156:159], a[60:61], v[108:109], v[156:159]// 00000000B614: D3F3009C 0E72D93C
	v_mfma_f32_16x16x32_fp8_fp8 v[156:159], a[62:63], v[110:111], v[156:159]// 00000000B61C: D3F3009C 0E72DD3E
	buffer_load_dword v52, v2, s[32:35], 0 offen               // 00000000B624: E0501000 80083402
	v_mov_b32_dpp v41, v53 row_shr:4 row_mask:0xf bank_mask:0xf// 00000000B62C: 7E5202FA FF011435
	v_mov_b32_dpp v42, v53 row_shl:4 row_mask:0xf bank_mask:0xf// 00000000B634: 7E5402FA FF010435
	v_cndmask_b32_e64 v248, v53, v41, s[44:45]                 // 00000000B63C: D10000F8 00B25335
	v_cndmask_b32_e64 v249, v42, v53, s[44:45]                 // 00000000B644: D10000F9 00B26B2A
	v_mov_b32_dpp v41, v248 row_shr:8 row_mask:0xf bank_mask:0xf// 00000000B64C: 7E5202FA FF0118F8
	v_mov_b32_dpp v42, v248 row_shl:8 row_mask:0xf bank_mask:0xf// 00000000B654: 7E5402FA FF0108F8
	v_mov_b32_dpp v43, v249 row_shr:8 row_mask:0xf bank_mask:0xf// 00000000B65C: 7E5602FA FF0118F9
	v_mov_b32_dpp v44, v249 row_shl:8 row_mask:0xf bank_mask:0xf// 00000000B664: 7E5802FA FF0108F9
	v_mov_b32_e32 v45, v248                                    // 00000000B66C: 7E5A03F8
	v_mov_b32_e32 v46, v249                                    // 00000000B670: 7E5C03F9
	v_cndmask_b32_e64 v248, v45, v41, s[42:43]                 // 00000000B674: D10000F8 00AA532D
	v_cndmask_b32_e64 v250, v45, v42, s[78:79]                 // 00000000B67C: D10000FA 013A552D
	v_cndmask_b32_e64 v249, v46, v43, s[42:43]                 // 00000000B684: D10000F9 00AA572E
	v_cndmask_b32_e64 v251, v46, v44, s[78:79]                 // 00000000B68C: D10000FB 013A592E
	v_mov_b32_dpp v41, v73 row_shr:4 row_mask:0xf bank_mask:0xf// 00000000B694: 7E5202FA FF011449
	v_mov_b32_dpp v42, v73 row_shl:4 row_mask:0xf bank_mask:0xf// 00000000B69C: 7E5402FA FF010449
	v_cndmask_b32_e64 v252, v73, v41, s[44:45]                 // 00000000B6A4: D10000FC 00B25349
	v_cndmask_b32_e64 v253, v42, v73, s[44:45]                 // 00000000B6AC: D10000FD 00B2932A
	v_mov_b32_dpp v41, v252 row_shr:8 row_mask:0xf bank_mask:0xf// 00000000B6B4: 7E5202FA FF0118FC
	v_mov_b32_dpp v42, v252 row_shl:8 row_mask:0xf bank_mask:0xf// 00000000B6BC: 7E5402FA FF0108FC
	v_mov_b32_dpp v43, v253 row_shr:8 row_mask:0xf bank_mask:0xf// 00000000B6C4: 7E5602FA FF0118FD
	v_mov_b32_dpp v44, v253 row_shl:8 row_mask:0xf bank_mask:0xf// 00000000B6CC: 7E5802FA FF0108FD
	v_mov_b32_e32 v45, v252                                    // 00000000B6D4: 7E5A03FC
	v_mov_b32_e32 v46, v253                                    // 00000000B6D8: 7E5C03FD
	v_cndmask_b32_e64 v252, v45, v41, s[42:43]                 // 00000000B6DC: D10000FC 00AA532D
	v_cndmask_b32_e64 v254, v45, v42, s[78:79]                 // 00000000B6E4: D10000FE 013A552D
	v_cndmask_b32_e64 v253, v46, v43, s[42:43]                 // 00000000B6EC: D10000FD 00AA572E
	v_cndmask_b32_e64 v255, v46, v44, s[78:79]                 // 00000000B6F4: D10000FF 013A592E
	buffer_load_dword v72, v70, s[36:39], 0 offen              // 00000000B6FC: E0501000 80094846
	v_mul_f32_e32 v128, v54, v128                              // 00000000B704: 0B010136
	v_mul_f32_e32 v129, v54, v129                              // 00000000B708: 0B030336
	v_mul_f32_e32 v130, v54, v130                              // 00000000B70C: 0B050536
	v_mul_f32_e32 v131, v54, v131                              // 00000000B710: 0B070736
	v_mul_f32_e32 v132, v54, v132                              // 00000000B714: 0B090936
	v_mul_f32_e32 v133, v54, v133                              // 00000000B718: 0B0B0B36
	v_mul_f32_e32 v134, v54, v134                              // 00000000B71C: 0B0D0D36
	v_mul_f32_e32 v135, v54, v135                              // 00000000B720: 0B0F0F36
	v_mul_f32_e32 v136, v54, v136                              // 00000000B724: 0B111136
	v_mul_f32_e32 v137, v54, v137                              // 00000000B728: 0B131336
	v_mul_f32_e32 v138, v54, v138                              // 00000000B72C: 0B151536
	v_mul_f32_e32 v139, v54, v139                              // 00000000B730: 0B171736
	v_mul_f32_e32 v140, v54, v140                              // 00000000B734: 0B191936
	v_mul_f32_e32 v141, v54, v141                              // 00000000B738: 0B1B1B36
	v_mul_f32_e32 v142, v54, v142                              // 00000000B73C: 0B1D1D36
	v_mul_f32_e32 v143, v54, v143                              // 00000000B740: 0B1F1F36
	buffer_load_dwordx4 a[16:19], v27, s[16:19], 0 offen       // 00000000B744: E05C1000 8084101B
	v_mul_f32_dpp v128, v248, v128 quad_perm:[0,0,0,0] row_mask:0xf bank_mask:0xf// 00000000B74C: 0B0100FA FF0000F8
	v_mul_f32_dpp v129, v248, v129 quad_perm:[1,1,1,1] row_mask:0xf bank_mask:0xf// 00000000B754: 0B0302FA FF0055F8
	v_mul_f32_dpp v130, v248, v130 quad_perm:[2,2,2,2] row_mask:0xf bank_mask:0xf// 00000000B75C: 0B0504FA FF00AAF8
	v_mul_f32_dpp v131, v248, v131 quad_perm:[3,3,3,3] row_mask:0xf bank_mask:0xf// 00000000B764: 0B0706FA FF00FFF8
	v_mul_f32_dpp v132, v249, v132 quad_perm:[0,0,0,0] row_mask:0xf bank_mask:0xf// 00000000B76C: 0B0908FA FF0000F9
	v_mul_f32_dpp v133, v249, v133 quad_perm:[1,1,1,1] row_mask:0xf bank_mask:0xf// 00000000B774: 0B0B0AFA FF0055F9
	v_mul_f32_dpp v134, v249, v134 quad_perm:[2,2,2,2] row_mask:0xf bank_mask:0xf// 00000000B77C: 0B0D0CFA FF00AAF9
	v_mul_f32_dpp v135, v249, v135 quad_perm:[3,3,3,3] row_mask:0xf bank_mask:0xf// 00000000B784: 0B0F0EFA FF00FFF9
	v_mul_f32_dpp v136, v250, v136 quad_perm:[0,0,0,0] row_mask:0xf bank_mask:0xf// 00000000B78C: 0B1110FA FF0000FA
	v_mul_f32_dpp v137, v250, v137 quad_perm:[1,1,1,1] row_mask:0xf bank_mask:0xf// 00000000B794: 0B1312FA FF0055FA
	v_mul_f32_dpp v138, v250, v138 quad_perm:[2,2,2,2] row_mask:0xf bank_mask:0xf// 00000000B79C: 0B1514FA FF00AAFA
	v_mul_f32_dpp v139, v250, v139 quad_perm:[3,3,3,3] row_mask:0xf bank_mask:0xf// 00000000B7A4: 0B1716FA FF00FFFA
	v_mul_f32_dpp v140, v251, v140 quad_perm:[0,0,0,0] row_mask:0xf bank_mask:0xf// 00000000B7AC: 0B1918FA FF0000FB
	v_mul_f32_dpp v141, v251, v141 quad_perm:[1,1,1,1] row_mask:0xf bank_mask:0xf// 00000000B7B4: 0B1B1AFA FF0055FB
	v_mul_f32_dpp v142, v251, v142 quad_perm:[2,2,2,2] row_mask:0xf bank_mask:0xf// 00000000B7BC: 0B1D1CFA FF00AAFB
	v_mul_f32_dpp v143, v251, v143 quad_perm:[3,3,3,3] row_mask:0xf bank_mask:0xf// 00000000B7C4: 0B1F1EFA FF00FFFB
	buffer_load_dwordx4 a[20:23], v27, s[16:19], 0 offen offset:1024// 00000000B7CC: E05C1400 8084141B
	v_mov_b32_e32 v62, v128                                    // 00000000B7D4: 7E7C0380
	v_max3_f32 v62, v128, v129, v62                            // 00000000B7D8: D1D3003E 04FB0380
	v_max3_f32 v62, v130, v131, v62                            // 00000000B7E0: D1D3003E 04FB0782
	v_max3_f32 v62, v132, v133, v62                            // 00000000B7E8: D1D3003E 04FB0B84
	v_max3_f32 v62, v134, v135, v62                            // 00000000B7F0: D1D3003E 04FB0F86
	v_max3_f32 v62, v136, v137, v62                            // 00000000B7F8: D1D3003E 04FB1388
	v_max3_f32 v62, v138, v139, v62                            // 00000000B800: D1D3003E 04FB178A
	v_max3_f32 v62, v140, v141, v62                            // 00000000B808: D1D3003E 04FB1B8C
	v_max3_f32 v62, v142, v143, v62                            // 00000000B810: D1D3003E 04FB1F8E
	ds_write_b32 v11, v62 offset:16896                         // 00000000B818: D81A4200 00003E0B
	buffer_load_dwordx4 a[24:27], v28, s[16:19], 0 offen       // 00000000B820: E05C1000 8084181C
	v_mul_u32_u24_dpp v41, v19, v68 row_newbcast:1 row_mask:0xf bank_mask:0xf// 00000000B828: 105288FA FF015113
	v_mul_u32_u24_dpp v42, v19, v68 row_newbcast:5 row_mask:0xf bank_mask:0xf// 00000000B830: 105488FA FF015513
	v_mul_u32_u24_dpp v43, v19, v68 row_newbcast:9 row_mask:0xf bank_mask:0xf// 00000000B838: 105688FA FF015913
	v_mul_u32_u24_dpp v44, v19, v68 row_newbcast:13 row_mask:0xf bank_mask:0xf// 00000000B840: 105888FA FF015D13
	v_add_u32_e32 v33, v41, v7                                 // 00000000B848: 68420F29
	v_add_u32_e32 v34, v42, v7                                 // 00000000B84C: 68440F2A
	v_add_u32_e32 v35, v43, v7                                 // 00000000B850: 68460F2B
	v_add_u32_e32 v36, v44, v7                                 // 00000000B854: 68480F2C
	v_mul_f32_e32 v224, v63, v224                              // 00000000B858: 0BC1C13F
	v_mul_f32_e32 v225, v63, v225                              // 00000000B85C: 0BC3C33F
	v_mul_f32_e32 v226, v63, v226                              // 00000000B860: 0BC5C53F
	v_mul_f32_e32 v227, v63, v227                              // 00000000B864: 0BC7C73F
	v_mul_f32_e32 v228, v63, v228                              // 00000000B868: 0BC9C93F
	v_mul_f32_e32 v229, v63, v229                              // 00000000B86C: 0BCBCB3F
	v_mul_f32_e32 v230, v63, v230                              // 00000000B870: 0BCDCD3F
	v_mul_f32_e32 v231, v63, v231                              // 00000000B874: 0BCFCF3F
	s_waitcnt lgkmcnt(0)                                       // 00000000B878: BF8CC07F
	s_barrier                                                  // 00000000B87C: BF8A0000
	ds_read_b32 v80, v10 offset:16896                          // 00000000B880: D86C4200 5000000A
	ds_read_b32 v81, v10 offset:16960                          // 00000000B888: D86C4240 5100000A
	ds_read_b32 v82, v10 offset:17024                          // 00000000B890: D86C4280 5200000A
	ds_read_b32 v83, v10 offset:17088                          // 00000000B898: D86C42C0 5300000A
	ds_read_b32 v84, v10 offset:17152                          // 00000000B8A0: D86C4300 5400000A
	ds_read_b32 v85, v10 offset:17216                          // 00000000B8A8: D86C4340 5500000A
	ds_read_b32 v86, v10 offset:17280                          // 00000000B8B0: D86C4380 5600000A
	ds_read_b32 v87, v10 offset:17344                          // 00000000B8B8: D86C43C0 5700000A
	ds_read_b32 v88, v10 offset:17408                          // 00000000B8C0: D86C4400 5800000A
	ds_read_b32 v89, v10 offset:17472                          // 00000000B8C8: D86C4440 5900000A
	ds_read_b32 v90, v10 offset:17536                          // 00000000B8D0: D86C4480 5A00000A
	ds_read_b32 v91, v10 offset:17600                          // 00000000B8D8: D86C44C0 5B00000A
	ds_read_b32 v92, v10 offset:17664                          // 00000000B8E0: D86C4500 5C00000A
	ds_read_b32 v93, v10 offset:17728                          // 00000000B8E8: D86C4540 5D00000A
	ds_read_b32 v94, v10 offset:17792                          // 00000000B8F0: D86C4580 5E00000A
	ds_read_b32 v95, v10 offset:17856                          // 00000000B8F8: D86C45C0 5F00000A
	buffer_load_dwordx4 a[28:31], v28, s[16:19], 0 offen offset:1024// 00000000B900: E05C1400 80841C1C
	v_mul_f32_e32 v192, v58, v192                              // 00000000B908: 0B81813A
	v_mul_f32_e32 v193, v58, v193                              // 00000000B90C: 0B83833A
	v_mul_f32_e32 v194, v58, v194                              // 00000000B910: 0B85853A
	v_mul_f32_e32 v195, v58, v195                              // 00000000B914: 0B87873A
	v_mul_f32_e32 v196, v58, v196                              // 00000000B918: 0B89893A
	v_mul_f32_e32 v197, v58, v197                              // 00000000B91C: 0B8B8B3A
	v_mul_f32_e32 v198, v58, v198                              // 00000000B920: 0B8D8D3A
	v_mul_f32_e32 v199, v58, v199                              // 00000000B924: 0B8F8F3A
	s_waitcnt lgkmcnt(0)                                       // 00000000B928: BF8CC07F
	v_max3_f32 v62, v80, v81, v62                              // 00000000B92C: D1D3003E 04FAA350
	v_max3_f32 v62, v82, v83, v62                              // 00000000B934: D1D3003E 04FAA752
	v_max3_f32 v62, v84, v85, v62                              // 00000000B93C: D1D3003E 04FAAB54
	v_max3_f32 v62, v86, v87, v62                              // 00000000B944: D1D3003E 04FAAF56
	v_max3_f32 v62, v88, v89, v62                              // 00000000B94C: D1D3003E 04FAB358
	v_max3_f32 v62, v90, v91, v62                              // 00000000B954: D1D3003E 04FAB75A
	v_max3_f32 v62, v92, v93, v62                              // 00000000B95C: D1D3003E 04FABB5C
	v_max3_f32 v62, v94, v95, v62                              // 00000000B964: D1D3003E 04FABF5E
	buffer_load_dwordx4 a[64:67], v33, s[20:23], 0 offen       // 00000000B96C: E05C1000 80854021
	v_mov_b32_e32 v41, 0xff800000                              // 00000000B974: 7E5202FF FF800000
	v_cmp_eq_u32_e64 s[40:41], v41, v14                        // 00000000B97C: D0CA0028 00021D29
	s_nop 1                                                    // 00000000B984: BF800001
	v_max_f32_e32 v18, v62, v14                                // 00000000B988: 16241D3E
	v_mul_f32_e32 v67, s64, v18                                // 00000000B98C: 0A862440
	v_fma_f32 v128, v128, s64, -v67                            // 00000000B990: D1CB0080 850C8180
	v_fma_f32 v129, v129, s64, -v67                            // 00000000B998: D1CB0081 850C8181
	v_fma_f32 v130, v130, s64, -v67                            // 00000000B9A0: D1CB0082 850C8182
	v_fma_f32 v131, v131, s64, -v67                            // 00000000B9A8: D1CB0083 850C8183
	v_fma_f32 v132, v132, s64, -v67                            // 00000000B9B0: D1CB0084 850C8184
	v_fma_f32 v133, v133, s64, -v67                            // 00000000B9B8: D1CB0085 850C8185
	v_fma_f32 v134, v134, s64, -v67                            // 00000000B9C0: D1CB0086 850C8186
	v_fma_f32 v135, v135, s64, -v67                            // 00000000B9C8: D1CB0087 850C8187
	v_fma_f32 v136, v136, s64, -v67                            // 00000000B9D0: D1CB0088 850C8188
	v_fma_f32 v137, v137, s64, -v67                            // 00000000B9D8: D1CB0089 850C8189
	v_fma_f32 v138, v138, s64, -v67                            // 00000000B9E0: D1CB008A 850C818A
	v_fma_f32 v139, v139, s64, -v67                            // 00000000B9E8: D1CB008B 850C818B
	v_fma_f32 v140, v140, s64, -v67                            // 00000000B9F0: D1CB008C 850C818C
	v_fma_f32 v141, v141, s64, -v67                            // 00000000B9F8: D1CB008D 850C818D
	v_fma_f32 v142, v142, s64, -v67                            // 00000000BA00: D1CB008E 850C818E
	v_fma_f32 v143, v143, s64, -v67                            // 00000000BA08: D1CB008F 850C818F
	buffer_load_dwordx4 a[68:71], v34, s[20:23], 0 offen       // 00000000BA10: E05C1000 80854422
	v_exp_f32_e32 v128, v128                                   // 00000000BA18: 7F004180
	v_exp_f32_e32 v129, v129                                   // 00000000BA1C: 7F024181
	v_exp_f32_e32 v130, v130                                   // 00000000BA20: 7F044182
	v_exp_f32_e32 v131, v131                                   // 00000000BA24: 7F064183
	v_exp_f32_e32 v132, v132                                   // 00000000BA28: 7F084184
	v_exp_f32_e32 v133, v133                                   // 00000000BA2C: 7F0A4185
	v_exp_f32_e32 v134, v134                                   // 00000000BA30: 7F0C4186
	v_exp_f32_e32 v135, v135                                   // 00000000BA34: 7F0E4187
	v_exp_f32_e32 v136, v136                                   // 00000000BA38: 7F104188
	v_exp_f32_e32 v137, v137                                   // 00000000BA3C: 7F124189
	v_exp_f32_e32 v138, v138                                   // 00000000BA40: 7F14418A
	v_exp_f32_e32 v139, v139                                   // 00000000BA44: 7F16418B
	v_exp_f32_e32 v140, v140                                   // 00000000BA48: 7F18418C
	v_exp_f32_e32 v141, v141                                   // 00000000BA4C: 7F1A418D
	v_exp_f32_e32 v142, v142                                   // 00000000BA50: 7F1C418E
	v_exp_f32_e32 v143, v143                                   // 00000000BA54: 7F1E418F
	buffer_load_dwordx4 a[72:75], v35, s[20:23], 0 offen       // 00000000BA58: E05C1000 80854823
	v_mul_f32_dpp v240, v252, v128 quad_perm:[0,0,0,0] row_mask:0xf bank_mask:0xf// 00000000BA60: 0BE100FA FF0000FC
	v_mul_f32_dpp v241, v252, v129 quad_perm:[1,1,1,1] row_mask:0xf bank_mask:0xf// 00000000BA68: 0BE302FA FF0055FC
	v_mul_f32_dpp v242, v252, v130 quad_perm:[2,2,2,2] row_mask:0xf bank_mask:0xf// 00000000BA70: 0BE504FA FF00AAFC
	v_mul_f32_dpp v243, v252, v131 quad_perm:[3,3,3,3] row_mask:0xf bank_mask:0xf// 00000000BA78: 0BE706FA FF00FFFC
	v_mul_f32_dpp v244, v253, v132 quad_perm:[0,0,0,0] row_mask:0xf bank_mask:0xf// 00000000BA80: 0BE908FA FF0000FD
	v_mul_f32_dpp v245, v253, v133 quad_perm:[1,1,1,1] row_mask:0xf bank_mask:0xf// 00000000BA88: 0BEB0AFA FF0055FD
	v_mul_f32_dpp v246, v253, v134 quad_perm:[2,2,2,2] row_mask:0xf bank_mask:0xf// 00000000BA90: 0BED0CFA FF00AAFD
	v_mul_f32_dpp v247, v253, v135 quad_perm:[3,3,3,3] row_mask:0xf bank_mask:0xf// 00000000BA98: 0BEF0EFA FF00FFFD
	v_mul_f32_dpp v248, v254, v136 quad_perm:[0,0,0,0] row_mask:0xf bank_mask:0xf// 00000000BAA0: 0BF110FA FF0000FE
	v_mul_f32_dpp v249, v254, v137 quad_perm:[1,1,1,1] row_mask:0xf bank_mask:0xf// 00000000BAA8: 0BF312FA FF0055FE
	v_mul_f32_dpp v250, v254, v138 quad_perm:[2,2,2,2] row_mask:0xf bank_mask:0xf// 00000000BAB0: 0BF514FA FF00AAFE
	v_mul_f32_dpp v251, v254, v139 quad_perm:[3,3,3,3] row_mask:0xf bank_mask:0xf// 00000000BAB8: 0BF716FA FF00FFFE
	v_mul_f32_dpp v252, v255, v140 quad_perm:[0,0,0,0] row_mask:0xf bank_mask:0xf// 00000000BAC0: 0BF918FA FF0000FF
	v_mul_f32_dpp v253, v255, v141 quad_perm:[1,1,1,1] row_mask:0xf bank_mask:0xf// 00000000BAC8: 0BFB1AFA FF0055FF
	v_mul_f32_dpp v254, v255, v142 quad_perm:[2,2,2,2] row_mask:0xf bank_mask:0xf// 00000000BAD0: 0BFD1CFA FF00AAFF
	v_mul_f32_dpp v255, v255, v143 quad_perm:[3,3,3,3] row_mask:0xf bank_mask:0xf// 00000000BAD8: 0BFF1EFA FF00FFFF
	v_mov_b32_e32 v62, 0x358637bd                              // 00000000BAE0: 7E7C02FF 358637BD
	v_max3_f32 v62, |v240|, |v241|, v62                        // 00000000BAE8: D1D3033E 04FBE3F0
	v_max3_f32 v62, |v242|, |v243|, v62                        // 00000000BAF0: D1D3033E 04FBE7F2
	v_max3_f32 v62, |v244|, |v245|, v62                        // 00000000BAF8: D1D3033E 04FBEBF4
	v_max3_f32 v62, |v246|, |v247|, v62                        // 00000000BB00: D1D3033E 04FBEFF6
	v_max3_f32 v62, |v248|, |v249|, v62                        // 00000000BB08: D1D3033E 04FBF3F8
	v_max3_f32 v62, |v250|, |v251|, v62                        // 00000000BB10: D1D3033E 04FBF7FA
	v_max3_f32 v62, |v252|, |v253|, v62                        // 00000000BB18: D1D3033E 04FBFBFC
	v_max3_f32 v62, |v254|, |v255|, v62                        // 00000000BB20: D1D3033E 04FBFFFE
	buffer_load_dwordx4 a[76:79], v36, s[20:23], 0 offen       // 00000000BB28: E05C1000 80854C24
	ds_write_b32 v11, v62 offset:20992                         // 00000000BB30: D81A5200 00003E0B
	v_sub_f32_e32 v63, v14, v18                                // 00000000BB38: 047E250E
	v_cndmask_b32_e64 v63, v63, 0, s[40:41]                    // 00000000BB3C: D100003F 00A1013F
	v_mov_b32_e32 v14, v18                                     // 00000000BB44: 7E1C0312
	v_mul_f32_e32 v63, s64, v63                                // 00000000BB48: 0A7E7E40
	v_exp_f32_e32 v63, v63                                     // 00000000BB4C: 7E7E413F
	s_waitcnt lgkmcnt(0)                                       // 00000000BB50: BF8CC07F
	s_barrier                                                  // 00000000BB54: BF8A0000
	ds_read_b32 v80, v10 offset:20992                          // 00000000BB58: D86C5200 5000000A
	ds_read_b32 v81, v10 offset:21056                          // 00000000BB60: D86C5240 5100000A
	ds_read_b32 v82, v10 offset:21120                          // 00000000BB68: D86C5280 5200000A
	ds_read_b32 v83, v10 offset:21184                          // 00000000BB70: D86C52C0 5300000A
	ds_read_b32 v84, v10 offset:21248                          // 00000000BB78: D86C5300 5400000A
	ds_read_b32 v85, v10 offset:21312                          // 00000000BB80: D86C5340 5500000A
	ds_read_b32 v86, v10 offset:21376                          // 00000000BB88: D86C5380 5600000A
	ds_read_b32 v87, v10 offset:21440                          // 00000000BB90: D86C53C0 5700000A
	ds_read_b32 v88, v10 offset:21504                          // 00000000BB98: D86C5400 5800000A
	ds_read_b32 v89, v10 offset:21568                          // 00000000BBA0: D86C5440 5900000A
	ds_read_b32 v90, v10 offset:21632                          // 00000000BBA8: D86C5480 5A00000A
	ds_read_b32 v91, v10 offset:21696                          // 00000000BBB0: D86C54C0 5B00000A
	ds_read_b32 v92, v10 offset:21760                          // 00000000BBB8: D86C5500 5C00000A
	ds_read_b32 v93, v10 offset:21824                          // 00000000BBC0: D86C5540 5D00000A
	ds_read_b32 v94, v10 offset:21888                          // 00000000BBC8: D86C5580 5E00000A
	ds_read_b32 v95, v10 offset:21952                          // 00000000BBD0: D86C55C0 5F00000A
	v_mul_f32_e32 v47, v63, v47                                // 00000000BBD8: 0A5E5F3F
	v_mov_b32_e32 v18, v128                                    // 00000000BBDC: 7E240380
	v_add_f32_e32 v18, v129, v18                               // 00000000BBE0: 02242581
	v_add_f32_e32 v18, v130, v18                               // 00000000BBE4: 02242582
	v_add_f32_e32 v18, v131, v18                               // 00000000BBE8: 02242583
	v_add_f32_e32 v18, v132, v18                               // 00000000BBEC: 02242584
	v_add_f32_e32 v18, v133, v18                               // 00000000BBF0: 02242585
	v_add_f32_e32 v18, v134, v18                               // 00000000BBF4: 02242586
	v_add_f32_e32 v18, v135, v18                               // 00000000BBF8: 02242587
	v_add_f32_e32 v18, v136, v18                               // 00000000BBFC: 02242588
	v_add_f32_e32 v18, v137, v18                               // 00000000BC00: 02242589
	v_add_f32_e32 v18, v138, v18                               // 00000000BC04: 0224258A
	v_add_f32_e32 v18, v139, v18                               // 00000000BC08: 0224258B
	v_add_f32_e32 v18, v140, v18                               // 00000000BC0C: 0224258C
	v_add_f32_e32 v18, v141, v18                               // 00000000BC10: 0224258D
	v_add_f32_e32 v18, v142, v18                               // 00000000BC14: 0224258E
	v_add_f32_e32 v18, v143, v18                               // 00000000BC18: 0224258F
	v_add_f32_e32 v47, v18, v47                                // 00000000BC1C: 025E5F12
	s_waitcnt lgkmcnt(0)                                       // 00000000BC20: BF8CC07F
	v_max3_f32 v62, |v80|, |v81|, v62                          // 00000000BC24: D1D3033E 04FAA350
	v_max3_f32 v62, |v82|, |v83|, v62                          // 00000000BC2C: D1D3033E 04FAA752
	v_max3_f32 v62, |v84|, |v85|, v62                          // 00000000BC34: D1D3033E 04FAAB54
	v_max3_f32 v62, |v86|, |v87|, v62                          // 00000000BC3C: D1D3033E 04FAAF56
	v_max3_f32 v62, |v88|, |v89|, v62                          // 00000000BC44: D1D3033E 04FAB358
	v_max3_f32 v62, |v90|, |v91|, v62                          // 00000000BC4C: D1D3033E 04FAB75A
	v_max3_f32 v62, |v92|, |v93|, v62                          // 00000000BC54: D1D3033E 04FABB5C
	v_max3_f32 v62, |v94|, |v95|, v62                          // 00000000BC5C: D1D3033E 04FABF5E
	s_nop 2                                                    // 00000000BC64: BF800002
	v_rcp_f32_e32 v62, v62                                     // 00000000BC68: 7E7C453E
	s_nop 1                                                    // 00000000BC6C: BF800001
	v_mul_f32_e32 v62, 0x43700000, v62                         // 00000000BC70: 0A7C7CFF 43700000
	v_mul_f32_e32 v128, v62, v240                              // 00000000BC78: 0B01E13E
	v_mul_f32_e32 v129, v62, v241                              // 00000000BC7C: 0B03E33E
	v_mul_f32_e32 v130, v62, v242                              // 00000000BC80: 0B05E53E
	v_mul_f32_e32 v131, v62, v243                              // 00000000BC84: 0B07E73E
	v_mul_f32_e32 v132, v62, v244                              // 00000000BC88: 0B09E93E
	v_mul_f32_e32 v133, v62, v245                              // 00000000BC8C: 0B0BEB3E
	v_mul_f32_e32 v134, v62, v246                              // 00000000BC90: 0B0DED3E
	v_mul_f32_e32 v135, v62, v247                              // 00000000BC94: 0B0FEF3E
	v_mul_f32_e32 v136, v62, v248                              // 00000000BC98: 0B11F13E
	v_mul_f32_e32 v137, v62, v249                              // 00000000BC9C: 0B13F33E
	v_mul_f32_e32 v138, v62, v250                              // 00000000BCA0: 0B15F53E
	v_mul_f32_e32 v139, v62, v251                              // 00000000BCA4: 0B17F73E
	v_mul_f32_e32 v140, v62, v252                              // 00000000BCA8: 0B19F93E
	v_mul_f32_e32 v141, v62, v253                              // 00000000BCAC: 0B1BFB3E
	v_mul_f32_e32 v142, v62, v254                              // 00000000BCB0: 0B1DFD3E
	v_mul_f32_e32 v143, v62, v255                              // 00000000BCB4: 0B1FFF3E
	v_cvt_pk_fp8_f32 v128, v128, v129                          // 00000000BCB8: D2A20080 00030380
	v_cvt_pk_fp8_f32 v128, v130, v131 op_sel:[0,0,1]           // 00000000BCC0: D2A24080 00030782
	v_cvt_pk_fp8_f32 v129, v132, v133                          // 00000000BCC8: D2A20081 00030B84
	v_cvt_pk_fp8_f32 v129, v134, v135 op_sel:[0,0,1]           // 00000000BCD0: D2A24081 00030F86
	v_cvt_pk_fp8_f32 v130, v136, v137                          // 00000000BCD8: D2A20082 00031388
	v_cvt_pk_fp8_f32 v130, v138, v139 op_sel:[0,0,1]           // 00000000BCE0: D2A24082 0003178A
	v_cvt_pk_fp8_f32 v131, v140, v141                          // 00000000BCE8: D2A20083 00031B8C
	v_cvt_pk_fp8_f32 v131, v142, v143 op_sel:[0,0,1]           // 00000000BCF0: D2A24083 00031F8E
	ds_write_b32 v13, v128 offset:25088                        // 00000000BCF8: D81A6200 0000800D
	ds_write_b32 v13, v129 offset:26112                        // 00000000BD00: D81A6600 0000810D
	ds_write_b32 v13, v130 offset:27136                        // 00000000BD08: D81A6A00 0000820D
	ds_write_b32 v13, v131 offset:28160                        // 00000000BD10: D81A6E00 0000830D
	v_add_f32_e32 v224, v224, v192                             // 00000000BD18: 03C181E0
	v_add_f32_e32 v225, v225, v193                             // 00000000BD1C: 03C383E1
	v_add_f32_e32 v226, v226, v194                             // 00000000BD20: 03C585E2
	v_add_f32_e32 v227, v227, v195                             // 00000000BD24: 03C787E3
	v_add_f32_e32 v228, v228, v196                             // 00000000BD28: 03C989E4
	v_add_f32_e32 v229, v229, v197                             // 00000000BD2C: 03CB8BE5
	v_add_f32_e32 v230, v230, v198                             // 00000000BD30: 03CD8DE6
	v_add_f32_e32 v231, v231, v199                             // 00000000BD34: 03CF8FE7
	v_rcp_f32_e32 v58, v62                                     // 00000000BD38: 7E74453E
	s_waitcnt lgkmcnt(0)                                       // 00000000BD3C: BF8CC07F
	s_barrier                                                  // 00000000BD40: BF8A0000
	ds_read_b64 v[128:129], v12 offset:25088                   // 00000000BD44: D8EC6200 8000000C
	ds_read_b64 v[130:131], v12 offset:25216                   // 00000000BD4C: D8EC6280 8200000C
	ds_read_b64 v[132:133], v12 offset:26112                   // 00000000BD54: D8EC6600 8400000C
	ds_read_b64 v[134:135], v12 offset:26240                   // 00000000BD5C: D8EC6680 8600000C
	ds_read_b64 v[136:137], v12 offset:27136                   // 00000000BD64: D8EC6A00 8800000C
	ds_read_b64 v[138:139], v12 offset:27264                   // 00000000BD6C: D8EC6A80 8A00000C
	ds_read_b64 v[140:141], v12 offset:28160                   // 00000000BD74: D8EC6E00 8C00000C
	ds_read_b64 v[142:143], v12 offset:28288                   // 00000000BD7C: D8EC6E80 8E00000C
	v_mov_b32_dpp v41, v53 row_shr:4 row_mask:0xf bank_mask:0xf// 00000000BD84: 7E5202FA FF011435
	v_mov_b32_dpp v42, v53 row_shl:4 row_mask:0xf bank_mask:0xf// 00000000BD8C: 7E5402FA FF010435
	v_cndmask_b32_e64 v248, v53, v41, s[44:45]                 // 00000000BD94: D10000F8 00B25335
	v_cndmask_b32_e64 v249, v42, v53, s[44:45]                 // 00000000BD9C: D10000F9 00B26B2A
	v_mov_b32_dpp v41, v248 row_shr:8 row_mask:0xf bank_mask:0xf// 00000000BDA4: 7E5202FA FF0118F8
	v_mov_b32_dpp v42, v248 row_shl:8 row_mask:0xf bank_mask:0xf// 00000000BDAC: 7E5402FA FF0108F8
	v_mov_b32_dpp v43, v249 row_shr:8 row_mask:0xf bank_mask:0xf// 00000000BDB4: 7E5602FA FF0118F9
	v_mov_b32_dpp v44, v249 row_shl:8 row_mask:0xf bank_mask:0xf// 00000000BDBC: 7E5802FA FF0108F9
	v_mov_b32_e32 v45, v248                                    // 00000000BDC4: 7E5A03F8
	v_mov_b32_e32 v46, v249                                    // 00000000BDC8: 7E5C03F9
	v_cndmask_b32_e64 v248, v45, v41, s[42:43]                 // 00000000BDCC: D10000F8 00AA532D
	v_cndmask_b32_e64 v250, v45, v42, s[78:79]                 // 00000000BDD4: D10000FA 013A552D
	v_cndmask_b32_e64 v249, v46, v43, s[42:43]                 // 00000000BDDC: D10000F9 00AA572E
	v_cndmask_b32_e64 v251, v46, v44, s[78:79]                 // 00000000BDE4: D10000FB 013A592E
	v_mov_b32_dpp v41, v73 row_shr:4 row_mask:0xf bank_mask:0xf// 00000000BDEC: 7E5202FA FF011449
	v_mov_b32_dpp v42, v73 row_shl:4 row_mask:0xf bank_mask:0xf// 00000000BDF4: 7E5402FA FF010449
	v_cndmask_b32_e64 v252, v73, v41, s[44:45]                 // 00000000BDFC: D10000FC 00B25349
	v_cndmask_b32_e64 v253, v42, v73, s[44:45]                 // 00000000BE04: D10000FD 00B2932A
	v_mov_b32_dpp v41, v252 row_shr:8 row_mask:0xf bank_mask:0xf// 00000000BE0C: 7E5202FA FF0118FC
	v_mov_b32_dpp v42, v252 row_shl:8 row_mask:0xf bank_mask:0xf// 00000000BE14: 7E5402FA FF0108FC
	v_mov_b32_dpp v43, v253 row_shr:8 row_mask:0xf bank_mask:0xf// 00000000BE1C: 7E5602FA FF0118FD
	v_mov_b32_dpp v44, v253 row_shl:8 row_mask:0xf bank_mask:0xf// 00000000BE24: 7E5802FA FF0108FD
	v_mov_b32_e32 v45, v252                                    // 00000000BE2C: 7E5A03FC
	v_mov_b32_e32 v46, v253                                    // 00000000BE30: 7E5C03FD
	v_cndmask_b32_e64 v252, v45, v41, s[42:43]                 // 00000000BE34: D10000FC 00AA532D
	v_cndmask_b32_e64 v254, v45, v42, s[78:79]                 // 00000000BE3C: D10000FE 013A552D
	v_cndmask_b32_e64 v253, v46, v43, s[42:43]                 // 00000000BE44: D10000FD 00AA572E
	v_cndmask_b32_e64 v255, v46, v44, s[78:79]                 // 00000000BE4C: D10000FF 013A592E
	v_mul_f32_e32 v144, v55, v144                              // 00000000BE54: 0B212137
	v_mul_f32_e32 v145, v55, v145                              // 00000000BE58: 0B232337
	v_mul_f32_e32 v146, v55, v146                              // 00000000BE5C: 0B252537
	v_mul_f32_e32 v147, v55, v147                              // 00000000BE60: 0B272737
	v_mul_f32_e32 v148, v55, v148                              // 00000000BE64: 0B292937
	v_mul_f32_e32 v149, v55, v149                              // 00000000BE68: 0B2B2B37
	v_mul_f32_e32 v150, v55, v150                              // 00000000BE6C: 0B2D2D37
	v_mul_f32_e32 v151, v55, v151                              // 00000000BE70: 0B2F2F37
	v_mul_f32_e32 v152, v55, v152                              // 00000000BE74: 0B313137
	v_mul_f32_e32 v153, v55, v153                              // 00000000BE78: 0B333337
	v_mul_f32_e32 v154, v55, v154                              // 00000000BE7C: 0B353537
	v_mul_f32_e32 v155, v55, v155                              // 00000000BE80: 0B373737
	v_mul_f32_e32 v156, v55, v156                              // 00000000BE84: 0B393937
	v_mul_f32_e32 v157, v55, v157                              // 00000000BE88: 0B3B3B37
	v_mul_f32_e32 v158, v55, v158                              // 00000000BE8C: 0B3D3D37
	v_mul_f32_e32 v159, v55, v159                              // 00000000BE90: 0B3F3F37
	v_mul_f32_dpp v144, v248, v144 quad_perm:[0,0,0,0] row_mask:0xf bank_mask:0xf// 00000000BE94: 0B2120FA FF0000F8
	v_mul_f32_dpp v145, v248, v145 quad_perm:[1,1,1,1] row_mask:0xf bank_mask:0xf// 00000000BE9C: 0B2322FA FF0055F8
	v_mul_f32_dpp v146, v248, v146 quad_perm:[2,2,2,2] row_mask:0xf bank_mask:0xf// 00000000BEA4: 0B2524FA FF00AAF8
	v_mul_f32_dpp v147, v248, v147 quad_perm:[3,3,3,3] row_mask:0xf bank_mask:0xf// 00000000BEAC: 0B2726FA FF00FFF8
	v_mul_f32_dpp v148, v249, v148 quad_perm:[0,0,0,0] row_mask:0xf bank_mask:0xf// 00000000BEB4: 0B2928FA FF0000F9
	v_mul_f32_dpp v149, v249, v149 quad_perm:[1,1,1,1] row_mask:0xf bank_mask:0xf// 00000000BEBC: 0B2B2AFA FF0055F9
	v_mul_f32_dpp v150, v249, v150 quad_perm:[2,2,2,2] row_mask:0xf bank_mask:0xf// 00000000BEC4: 0B2D2CFA FF00AAF9
	v_mul_f32_dpp v151, v249, v151 quad_perm:[3,3,3,3] row_mask:0xf bank_mask:0xf// 00000000BECC: 0B2F2EFA FF00FFF9
	v_mul_f32_dpp v152, v250, v152 quad_perm:[0,0,0,0] row_mask:0xf bank_mask:0xf// 00000000BED4: 0B3130FA FF0000FA
	v_mul_f32_dpp v153, v250, v153 quad_perm:[1,1,1,1] row_mask:0xf bank_mask:0xf// 00000000BEDC: 0B3332FA FF0055FA
	v_mul_f32_dpp v154, v250, v154 quad_perm:[2,2,2,2] row_mask:0xf bank_mask:0xf// 00000000BEE4: 0B3534FA FF00AAFA
	v_mul_f32_dpp v155, v250, v155 quad_perm:[3,3,3,3] row_mask:0xf bank_mask:0xf// 00000000BEEC: 0B3736FA FF00FFFA
	v_mul_f32_dpp v156, v251, v156 quad_perm:[0,0,0,0] row_mask:0xf bank_mask:0xf// 00000000BEF4: 0B3938FA FF0000FB
	v_mul_f32_dpp v157, v251, v157 quad_perm:[1,1,1,1] row_mask:0xf bank_mask:0xf// 00000000BEFC: 0B3B3AFA FF0055FB
	v_mul_f32_dpp v158, v251, v158 quad_perm:[2,2,2,2] row_mask:0xf bank_mask:0xf// 00000000BF04: 0B3D3CFA FF00AAFB
	v_mul_f32_dpp v159, v251, v159 quad_perm:[3,3,3,3] row_mask:0xf bank_mask:0xf// 00000000BF0C: 0B3F3EFA FF00FFFB
	v_mov_b32_e32 v62, v144                                    // 00000000BF14: 7E7C0390
	v_max3_f32 v62, v144, v145, v62                            // 00000000BF18: D1D3003E 04FB2390
	v_max3_f32 v62, v146, v147, v62                            // 00000000BF20: D1D3003E 04FB2792
	v_max3_f32 v62, v148, v149, v62                            // 00000000BF28: D1D3003E 04FB2B94
	v_max3_f32 v62, v150, v151, v62                            // 00000000BF30: D1D3003E 04FB2F96
	v_max3_f32 v62, v152, v153, v62                            // 00000000BF38: D1D3003E 04FB3398
	v_max3_f32 v62, v154, v155, v62                            // 00000000BF40: D1D3003E 04FB379A
	v_max3_f32 v62, v156, v157, v62                            // 00000000BF48: D1D3003E 04FB3B9C
	v_max3_f32 v62, v158, v159, v62                            // 00000000BF50: D1D3003E 04FB3F9E
	ds_write_b32 v11, v62 offset:16896                         // 00000000BF58: D81A4200 00003E0B
	v_mul_f32_e32 v232, v64, v232                              // 00000000BF60: 0BD1D140
	v_mul_f32_e32 v233, v64, v233                              // 00000000BF64: 0BD3D340
	v_mul_f32_e32 v234, v64, v234                              // 00000000BF68: 0BD5D540
	v_mul_f32_e32 v235, v64, v235                              // 00000000BF6C: 0BD7D740
	v_mul_f32_e32 v236, v64, v236                              // 00000000BF70: 0BD9D940
	v_mul_f32_e32 v237, v64, v237                              // 00000000BF74: 0BDBDB40
	v_mul_f32_e32 v238, v64, v238                              // 00000000BF78: 0BDDDD40
	v_mul_f32_e32 v239, v64, v239                              // 00000000BF7C: 0BDFDF40
	s_waitcnt lgkmcnt(0)                                       // 00000000BF80: BF8CC07F
	s_barrier                                                  // 00000000BF84: BF8A0000
	ds_read_b32 v80, v10 offset:16896                          // 00000000BF88: D86C4200 5000000A
	ds_read_b32 v81, v10 offset:16960                          // 00000000BF90: D86C4240 5100000A
	ds_read_b32 v82, v10 offset:17024                          // 00000000BF98: D86C4280 5200000A
	ds_read_b32 v83, v10 offset:17088                          // 00000000BFA0: D86C42C0 5300000A
	ds_read_b32 v84, v10 offset:17152                          // 00000000BFA8: D86C4300 5400000A
	ds_read_b32 v85, v10 offset:17216                          // 00000000BFB0: D86C4340 5500000A
	ds_read_b32 v86, v10 offset:17280                          // 00000000BFB8: D86C4380 5600000A
	ds_read_b32 v87, v10 offset:17344                          // 00000000BFC0: D86C43C0 5700000A
	ds_read_b32 v88, v10 offset:17408                          // 00000000BFC8: D86C4400 5800000A
	ds_read_b32 v89, v10 offset:17472                          // 00000000BFD0: D86C4440 5900000A
	ds_read_b32 v90, v10 offset:17536                          // 00000000BFD8: D86C4480 5A00000A
	ds_read_b32 v91, v10 offset:17600                          // 00000000BFE0: D86C44C0 5B00000A
	ds_read_b32 v92, v10 offset:17664                          // 00000000BFE8: D86C4500 5C00000A
	ds_read_b32 v93, v10 offset:17728                          // 00000000BFF0: D86C4540 5D00000A
	ds_read_b32 v94, v10 offset:17792                          // 00000000BFF8: D86C4580 5E00000A
	ds_read_b32 v95, v10 offset:17856                          // 00000000C000: D86C45C0 5F00000A
	v_mul_f32_e32 v200, v59, v200                              // 00000000C008: 0B91913B
	v_mul_f32_e32 v201, v59, v201                              // 00000000C00C: 0B93933B
	v_mul_f32_e32 v202, v59, v202                              // 00000000C010: 0B95953B
	v_mul_f32_e32 v203, v59, v203                              // 00000000C014: 0B97973B
	v_mul_f32_e32 v204, v59, v204                              // 00000000C018: 0B99993B
	v_mul_f32_e32 v205, v59, v205                              // 00000000C01C: 0B9B9B3B
	v_mul_f32_e32 v206, v59, v206                              // 00000000C020: 0B9D9D3B
	v_mul_f32_e32 v207, v59, v207                              // 00000000C024: 0B9F9F3B
	s_waitcnt lgkmcnt(0)                                       // 00000000C028: BF8CC07F
	v_max3_f32 v62, v80, v81, v62                              // 00000000C02C: D1D3003E 04FAA350
	v_max3_f32 v62, v82, v83, v62                              // 00000000C034: D1D3003E 04FAA752
	v_max3_f32 v62, v84, v85, v62                              // 00000000C03C: D1D3003E 04FAAB54
	v_max3_f32 v62, v86, v87, v62                              // 00000000C044: D1D3003E 04FAAF56
	v_max3_f32 v62, v88, v89, v62                              // 00000000C04C: D1D3003E 04FAB358
	v_max3_f32 v62, v90, v91, v62                              // 00000000C054: D1D3003E 04FAB75A
	v_max3_f32 v62, v92, v93, v62                              // 00000000C05C: D1D3003E 04FABB5C
	v_max3_f32 v62, v94, v95, v62                              // 00000000C064: D1D3003E 04FABF5E
	v_mov_b32_e32 v41, 0xff800000                              // 00000000C06C: 7E5202FF FF800000
	v_cmp_eq_u32_e64 s[40:41], v41, v15                        // 00000000C074: D0CA0028 00021F29
	s_nop 1                                                    // 00000000C07C: BF800001
	v_max_f32_e32 v18, v62, v15                                // 00000000C080: 16241F3E
	v_mul_f32_e32 v67, s64, v18                                // 00000000C084: 0A862440
	v_fma_f32 v144, v144, s64, -v67                            // 00000000C088: D1CB0090 850C8190
	v_fma_f32 v145, v145, s64, -v67                            // 00000000C090: D1CB0091 850C8191
	v_fma_f32 v146, v146, s64, -v67                            // 00000000C098: D1CB0092 850C8192
	v_fma_f32 v147, v147, s64, -v67                            // 00000000C0A0: D1CB0093 850C8193
	v_fma_f32 v148, v148, s64, -v67                            // 00000000C0A8: D1CB0094 850C8194
	v_fma_f32 v149, v149, s64, -v67                            // 00000000C0B0: D1CB0095 850C8195
	v_fma_f32 v150, v150, s64, -v67                            // 00000000C0B8: D1CB0096 850C8196
	v_fma_f32 v151, v151, s64, -v67                            // 00000000C0C0: D1CB0097 850C8197
	v_fma_f32 v152, v152, s64, -v67                            // 00000000C0C8: D1CB0098 850C8198
	v_fma_f32 v153, v153, s64, -v67                            // 00000000C0D0: D1CB0099 850C8199
	v_fma_f32 v154, v154, s64, -v67                            // 00000000C0D8: D1CB009A 850C819A
	v_fma_f32 v155, v155, s64, -v67                            // 00000000C0E0: D1CB009B 850C819B
	v_fma_f32 v156, v156, s64, -v67                            // 00000000C0E8: D1CB009C 850C819C
	v_fma_f32 v157, v157, s64, -v67                            // 00000000C0F0: D1CB009D 850C819D
	v_fma_f32 v158, v158, s64, -v67                            // 00000000C0F8: D1CB009E 850C819E
	v_fma_f32 v159, v159, s64, -v67                            // 00000000C100: D1CB009F 850C819F
	v_exp_f32_e32 v144, v144                                   // 00000000C108: 7F204190
	v_exp_f32_e32 v145, v145                                   // 00000000C10C: 7F224191
	v_exp_f32_e32 v146, v146                                   // 00000000C110: 7F244192
	v_exp_f32_e32 v147, v147                                   // 00000000C114: 7F264193
	v_exp_f32_e32 v148, v148                                   // 00000000C118: 7F284194
	v_exp_f32_e32 v149, v149                                   // 00000000C11C: 7F2A4195
	v_exp_f32_e32 v150, v150                                   // 00000000C120: 7F2C4196
	v_exp_f32_e32 v151, v151                                   // 00000000C124: 7F2E4197
	v_exp_f32_e32 v152, v152                                   // 00000000C128: 7F304198
	v_exp_f32_e32 v153, v153                                   // 00000000C12C: 7F324199
	v_exp_f32_e32 v154, v154                                   // 00000000C130: 7F34419A
	v_exp_f32_e32 v155, v155                                   // 00000000C134: 7F36419B
	v_exp_f32_e32 v156, v156                                   // 00000000C138: 7F38419C
	v_exp_f32_e32 v157, v157                                   // 00000000C13C: 7F3A419D
	v_exp_f32_e32 v158, v158                                   // 00000000C140: 7F3C419E
	v_exp_f32_e32 v159, v159                                   // 00000000C144: 7F3E419F
	v_mul_f32_dpp v240, v252, v144 quad_perm:[0,0,0,0] row_mask:0xf bank_mask:0xf// 00000000C148: 0BE120FA FF0000FC
	v_mul_f32_dpp v241, v252, v145 quad_perm:[1,1,1,1] row_mask:0xf bank_mask:0xf// 00000000C150: 0BE322FA FF0055FC
	v_mul_f32_dpp v242, v252, v146 quad_perm:[2,2,2,2] row_mask:0xf bank_mask:0xf// 00000000C158: 0BE524FA FF00AAFC
	v_mul_f32_dpp v243, v252, v147 quad_perm:[3,3,3,3] row_mask:0xf bank_mask:0xf// 00000000C160: 0BE726FA FF00FFFC
	v_mul_f32_dpp v244, v253, v148 quad_perm:[0,0,0,0] row_mask:0xf bank_mask:0xf// 00000000C168: 0BE928FA FF0000FD
	v_mul_f32_dpp v245, v253, v149 quad_perm:[1,1,1,1] row_mask:0xf bank_mask:0xf// 00000000C170: 0BEB2AFA FF0055FD
	v_mul_f32_dpp v246, v253, v150 quad_perm:[2,2,2,2] row_mask:0xf bank_mask:0xf// 00000000C178: 0BED2CFA FF00AAFD
	v_mul_f32_dpp v247, v253, v151 quad_perm:[3,3,3,3] row_mask:0xf bank_mask:0xf// 00000000C180: 0BEF2EFA FF00FFFD
	v_mul_f32_dpp v248, v254, v152 quad_perm:[0,0,0,0] row_mask:0xf bank_mask:0xf// 00000000C188: 0BF130FA FF0000FE
	v_mul_f32_dpp v249, v254, v153 quad_perm:[1,1,1,1] row_mask:0xf bank_mask:0xf// 00000000C190: 0BF332FA FF0055FE
	v_mul_f32_dpp v250, v254, v154 quad_perm:[2,2,2,2] row_mask:0xf bank_mask:0xf// 00000000C198: 0BF534FA FF00AAFE
	v_mul_f32_dpp v251, v254, v155 quad_perm:[3,3,3,3] row_mask:0xf bank_mask:0xf// 00000000C1A0: 0BF736FA FF00FFFE
	v_mul_f32_dpp v252, v255, v156 quad_perm:[0,0,0,0] row_mask:0xf bank_mask:0xf// 00000000C1A8: 0BF938FA FF0000FF
	v_mul_f32_dpp v253, v255, v157 quad_perm:[1,1,1,1] row_mask:0xf bank_mask:0xf// 00000000C1B0: 0BFB3AFA FF0055FF
	v_mul_f32_dpp v254, v255, v158 quad_perm:[2,2,2,2] row_mask:0xf bank_mask:0xf// 00000000C1B8: 0BFD3CFA FF00AAFF
	v_mul_f32_dpp v255, v255, v159 quad_perm:[3,3,3,3] row_mask:0xf bank_mask:0xf// 00000000C1C0: 0BFF3EFA FF00FFFF
	v_mov_b32_e32 v62, 0x358637bd                              // 00000000C1C8: 7E7C02FF 358637BD
	v_max3_f32 v62, |v240|, |v241|, v62                        // 00000000C1D0: D1D3033E 04FBE3F0
	v_max3_f32 v62, |v242|, |v243|, v62                        // 00000000C1D8: D1D3033E 04FBE7F2
	v_max3_f32 v62, |v244|, |v245|, v62                        // 00000000C1E0: D1D3033E 04FBEBF4
	v_max3_f32 v62, |v246|, |v247|, v62                        // 00000000C1E8: D1D3033E 04FBEFF6
	v_max3_f32 v62, |v248|, |v249|, v62                        // 00000000C1F0: D1D3033E 04FBF3F8
	v_max3_f32 v62, |v250|, |v251|, v62                        // 00000000C1F8: D1D3033E 04FBF7FA
	v_max3_f32 v62, |v252|, |v253|, v62                        // 00000000C200: D1D3033E 04FBFBFC
	v_max3_f32 v62, |v254|, |v255|, v62                        // 00000000C208: D1D3033E 04FBFFFE
	ds_write_b32 v11, v62 offset:20992                         // 00000000C210: D81A5200 00003E0B
	v_sub_f32_e32 v64, v15, v18                                // 00000000C218: 0480250F
	v_cndmask_b32_e64 v64, v64, 0, s[40:41]                    // 00000000C21C: D1000040 00A10140
	v_mov_b32_e32 v15, v18                                     // 00000000C224: 7E1E0312
	v_mul_f32_e32 v64, s64, v64                                // 00000000C228: 0A808040
	v_exp_f32_e32 v64, v64                                     // 00000000C22C: 7E804140
	s_waitcnt lgkmcnt(0)                                       // 00000000C230: BF8CC07F
	s_barrier                                                  // 00000000C234: BF8A0000
	ds_read_b32 v80, v10 offset:20992                          // 00000000C238: D86C5200 5000000A
	ds_read_b32 v81, v10 offset:21056                          // 00000000C240: D86C5240 5100000A
	ds_read_b32 v82, v10 offset:21120                          // 00000000C248: D86C5280 5200000A
	ds_read_b32 v83, v10 offset:21184                          // 00000000C250: D86C52C0 5300000A
	ds_read_b32 v84, v10 offset:21248                          // 00000000C258: D86C5300 5400000A
	ds_read_b32 v85, v10 offset:21312                          // 00000000C260: D86C5340 5500000A
	ds_read_b32 v86, v10 offset:21376                          // 00000000C268: D86C5380 5600000A
	ds_read_b32 v87, v10 offset:21440                          // 00000000C270: D86C53C0 5700000A
	ds_read_b32 v88, v10 offset:21504                          // 00000000C278: D86C5400 5800000A
	ds_read_b32 v89, v10 offset:21568                          // 00000000C280: D86C5440 5900000A
	ds_read_b32 v90, v10 offset:21632                          // 00000000C288: D86C5480 5A00000A
	ds_read_b32 v91, v10 offset:21696                          // 00000000C290: D86C54C0 5B00000A
	ds_read_b32 v92, v10 offset:21760                          // 00000000C298: D86C5500 5C00000A
	ds_read_b32 v93, v10 offset:21824                          // 00000000C2A0: D86C5540 5D00000A
	ds_read_b32 v94, v10 offset:21888                          // 00000000C2A8: D86C5580 5E00000A
	ds_read_b32 v95, v10 offset:21952                          // 00000000C2B0: D86C55C0 5F00000A
	v_mul_f32_e32 v48, v64, v48                                // 00000000C2B8: 0A606140
	v_mov_b32_e32 v18, v144                                    // 00000000C2BC: 7E240390
	v_add_f32_e32 v18, v145, v18                               // 00000000C2C0: 02242591
	v_add_f32_e32 v18, v146, v18                               // 00000000C2C4: 02242592
	v_add_f32_e32 v18, v147, v18                               // 00000000C2C8: 02242593
	v_add_f32_e32 v18, v148, v18                               // 00000000C2CC: 02242594
	v_add_f32_e32 v18, v149, v18                               // 00000000C2D0: 02242595
	v_add_f32_e32 v18, v150, v18                               // 00000000C2D4: 02242596
	v_add_f32_e32 v18, v151, v18                               // 00000000C2D8: 02242597
	v_add_f32_e32 v18, v152, v18                               // 00000000C2DC: 02242598
	v_add_f32_e32 v18, v153, v18                               // 00000000C2E0: 02242599
	v_add_f32_e32 v18, v154, v18                               // 00000000C2E4: 0224259A
	v_add_f32_e32 v18, v155, v18                               // 00000000C2E8: 0224259B
	v_add_f32_e32 v18, v156, v18                               // 00000000C2EC: 0224259C
	v_add_f32_e32 v18, v157, v18                               // 00000000C2F0: 0224259D
	v_add_f32_e32 v18, v158, v18                               // 00000000C2F4: 0224259E
	v_add_f32_e32 v18, v159, v18                               // 00000000C2F8: 0224259F
	v_add_f32_e32 v48, v18, v48                                // 00000000C2FC: 02606112
	s_waitcnt lgkmcnt(0)                                       // 00000000C300: BF8CC07F
	v_max3_f32 v62, |v80|, |v81|, v62                          // 00000000C304: D1D3033E 04FAA350
	v_max3_f32 v62, |v82|, |v83|, v62                          // 00000000C30C: D1D3033E 04FAA752
	v_max3_f32 v62, |v84|, |v85|, v62                          // 00000000C314: D1D3033E 04FAAB54
	v_max3_f32 v62, |v86|, |v87|, v62                          // 00000000C31C: D1D3033E 04FAAF56
	v_max3_f32 v62, |v88|, |v89|, v62                          // 00000000C324: D1D3033E 04FAB358
	v_max3_f32 v62, |v90|, |v91|, v62                          // 00000000C32C: D1D3033E 04FAB75A
	v_max3_f32 v62, |v92|, |v93|, v62                          // 00000000C334: D1D3033E 04FABB5C
	v_max3_f32 v62, |v94|, |v95|, v62                          // 00000000C33C: D1D3033E 04FABF5E
	s_nop 2                                                    // 00000000C344: BF800002
	v_rcp_f32_e32 v62, v62                                     // 00000000C348: 7E7C453E
	s_nop 1                                                    // 00000000C34C: BF800001
	v_mul_f32_e32 v62, 0x43700000, v62                         // 00000000C350: 0A7C7CFF 43700000
	v_mul_f32_e32 v144, v62, v240                              // 00000000C358: 0B21E13E
	v_mul_f32_e32 v145, v62, v241                              // 00000000C35C: 0B23E33E
	v_mul_f32_e32 v146, v62, v242                              // 00000000C360: 0B25E53E
	v_mul_f32_e32 v147, v62, v243                              // 00000000C364: 0B27E73E
	v_mul_f32_e32 v148, v62, v244                              // 00000000C368: 0B29E93E
	v_mul_f32_e32 v149, v62, v245                              // 00000000C36C: 0B2BEB3E
	v_mul_f32_e32 v150, v62, v246                              // 00000000C370: 0B2DED3E
	v_mul_f32_e32 v151, v62, v247                              // 00000000C374: 0B2FEF3E
	v_mul_f32_e32 v152, v62, v248                              // 00000000C378: 0B31F13E
	v_mul_f32_e32 v153, v62, v249                              // 00000000C37C: 0B33F33E
	v_mul_f32_e32 v154, v62, v250                              // 00000000C380: 0B35F53E
	v_mul_f32_e32 v155, v62, v251                              // 00000000C384: 0B37F73E
	v_mul_f32_e32 v156, v62, v252                              // 00000000C388: 0B39F93E
	v_mul_f32_e32 v157, v62, v253                              // 00000000C38C: 0B3BFB3E
	v_mul_f32_e32 v158, v62, v254                              // 00000000C390: 0B3DFD3E
	v_mul_f32_e32 v159, v62, v255                              // 00000000C394: 0B3FFF3E
	v_cvt_pk_fp8_f32 v144, v144, v145                          // 00000000C398: D2A20090 00032390
	v_cvt_pk_fp8_f32 v144, v146, v147 op_sel:[0,0,1]           // 00000000C3A0: D2A24090 00032792
	v_cvt_pk_fp8_f32 v145, v148, v149                          // 00000000C3A8: D2A20091 00032B94
	v_cvt_pk_fp8_f32 v145, v150, v151 op_sel:[0,0,1]           // 00000000C3B0: D2A24091 00032F96
	v_cvt_pk_fp8_f32 v146, v152, v153                          // 00000000C3B8: D2A20092 00033398
	v_cvt_pk_fp8_f32 v146, v154, v155 op_sel:[0,0,1]           // 00000000C3C0: D2A24092 0003379A
	v_cvt_pk_fp8_f32 v147, v156, v157                          // 00000000C3C8: D2A20093 00033B9C
	v_cvt_pk_fp8_f32 v147, v158, v159 op_sel:[0,0,1]           // 00000000C3D0: D2A24093 00033F9E
	ds_write_b32 v13, v144 offset:29184                        // 00000000C3D8: D81A7200 0000900D
	ds_write_b32 v13, v145 offset:30208                        // 00000000C3E0: D81A7600 0000910D
	ds_write_b32 v13, v146 offset:31232                        // 00000000C3E8: D81A7A00 0000920D
	ds_write_b32 v13, v147 offset:32256                        // 00000000C3F0: D81A7E00 0000930D
	v_add_f32_e32 v232, v232, v200                             // 00000000C3F8: 03D191E8
	v_add_f32_e32 v233, v233, v201                             // 00000000C3FC: 03D393E9
	v_add_f32_e32 v234, v234, v202                             // 00000000C400: 03D595EA
	v_add_f32_e32 v235, v235, v203                             // 00000000C404: 03D797EB
	v_add_f32_e32 v236, v236, v204                             // 00000000C408: 03D999EC
	v_add_f32_e32 v237, v237, v205                             // 00000000C40C: 03DB9BED
	v_add_f32_e32 v238, v238, v206                             // 00000000C410: 03DD9DEE
	v_add_f32_e32 v239, v239, v207                             // 00000000C414: 03DF9FEF
	v_rcp_f32_e32 v59, v62                                     // 00000000C418: 7E76453E
	s_waitcnt lgkmcnt(0)                                       // 00000000C41C: BF8CC07F
	s_barrier                                                  // 00000000C420: BF8A0000
	ds_read_b64 v[144:145], v12 offset:29184                   // 00000000C424: D8EC7200 9000000C
	ds_read_b64 v[146:147], v12 offset:29312                   // 00000000C42C: D8EC7280 9200000C
	ds_read_b64 v[148:149], v12 offset:30208                   // 00000000C434: D8EC7600 9400000C
	ds_read_b64 v[150:151], v12 offset:30336                   // 00000000C43C: D8EC7680 9600000C
	ds_read_b64 v[152:153], v12 offset:31232                   // 00000000C444: D8EC7A00 9800000C
	ds_read_b64 v[154:155], v12 offset:31360                   // 00000000C44C: D8EC7A80 9A00000C
	ds_read_b64 v[156:157], v12 offset:32256                   // 00000000C454: D8EC7E00 9C00000C
	ds_read_b64 v[158:159], v12 offset:32384                   // 00000000C45C: D8EC7E80 9E00000C
	s_waitcnt vmcnt(15)                                        // 00000000C464: BF8C0F7F
	v_mfma_f32_16x16x32_fp8_fp8 v[192:195], a[96:97], v[128:129], 0// 00000000C468: D3F300C0 0A030160
	v_mfma_f32_16x16x32_fp8_fp8 v[192:195], a[98:99], v[130:131], v[192:195]// 00000000C470: D3F300C0 0F030562
	buffer_load_dwordx4 a[80:83], v33, s[20:23], 0 offen offset:1024// 00000000C478: E05C1400 80855021
	v_mfma_f32_16x16x32_fp8_fp8 v[192:195], a[100:101], v[132:133], v[192:195]// 00000000C480: D3F300C0 0F030964
	v_mfma_f32_16x16x32_fp8_fp8 v[192:195], a[102:103], v[134:135], v[192:195]// 00000000C488: D3F300C0 0F030D66
	v_mfma_f32_16x16x32_fp8_fp8 v[192:195], a[104:105], v[136:137], v[192:195]// 00000000C490: D3F300C0 0F031168
	v_mfma_f32_16x16x32_fp8_fp8 v[192:195], a[106:107], v[138:139], v[192:195]// 00000000C498: D3F300C0 0F03156A
	buffer_load_dwordx4 a[84:87], v34, s[20:23], 0 offen offset:1024// 00000000C4A0: E05C1400 80855422
	v_mfma_f32_16x16x32_fp8_fp8 v[192:195], a[108:109], v[140:141], v[192:195]// 00000000C4A8: D3F300C0 0F03196C
	v_mfma_f32_16x16x32_fp8_fp8 v[192:195], a[110:111], v[142:143], v[192:195]// 00000000C4B0: D3F300C0 0F031D6E
	v_mfma_f32_16x16x32_fp8_fp8 v[196:199], a[112:113], v[128:129], 0// 00000000C4B8: D3F300C4 0A030170
	v_mfma_f32_16x16x32_fp8_fp8 v[196:199], a[114:115], v[130:131], v[196:199]// 00000000C4C0: D3F300C4 0F130572
	buffer_load_dwordx4 a[88:91], v35, s[20:23], 0 offen offset:1024// 00000000C4C8: E05C1400 80855823
	v_mfma_f32_16x16x32_fp8_fp8 v[196:199], a[116:117], v[132:133], v[196:199]// 00000000C4D0: D3F300C4 0F130974
	v_mfma_f32_16x16x32_fp8_fp8 v[196:199], a[118:119], v[134:135], v[196:199]// 00000000C4D8: D3F300C4 0F130D76
	v_mfma_f32_16x16x32_fp8_fp8 v[196:199], a[120:121], v[136:137], v[196:199]// 00000000C4E0: D3F300C4 0F131178
	v_mfma_f32_16x16x32_fp8_fp8 v[196:199], a[122:123], v[138:139], v[196:199]// 00000000C4E8: D3F300C4 0F13157A
	buffer_load_dwordx4 a[92:95], v36, s[20:23], 0 offen offset:1024// 00000000C4F0: E05C1400 80855C24
	v_mfma_f32_16x16x32_fp8_fp8 v[196:199], a[124:125], v[140:141], v[196:199]// 00000000C4F8: D3F300C4 0F13197C
	s_lshr_b32 s57, s70, 4                                     // 00000000C500: 8F398446
	s_add_u32 s57, 48, s57                                     // 00000000C504: 803939B0
	v_mfma_f32_16x16x32_fp8_fp8 v[196:199], a[126:127], v[142:143], v[196:199]// 00000000C508: D3F300C4 0F131D7E
	s_cmp_ge_u32 s57, s73                                      // 00000000C510: BF094939
	s_cselect_b32 s56, 0, s56                                  // 00000000C514: 85383880
	v_mfma_f32_16x16x32_fp8_fp8 v[200:203], a[96:97], v[144:145], 0// 00000000C518: D3F300C8 0A032160
	v_mfma_f32_16x16x32_fp8_fp8 v[200:203], a[98:99], v[146:147], v[200:203]// 00000000C520: D3F300C8 0F232562
	v_mfma_f32_16x16x32_fp8_fp8 v[200:203], a[100:101], v[148:149], v[200:203]// 00000000C528: D3F300C8 0F232964
	v_mfma_f32_16x16x32_fp8_fp8 v[200:203], a[102:103], v[150:151], v[200:203]// 00000000C530: D3F300C8 0F232D66
	v_mfma_f32_16x16x32_fp8_fp8 v[200:203], a[104:105], v[152:153], v[200:203]// 00000000C538: D3F300C8 0F233168
	v_mfma_f32_16x16x32_fp8_fp8 v[200:203], a[106:107], v[154:155], v[200:203]// 00000000C540: D3F300C8 0F23356A
	v_mfma_f32_16x16x32_fp8_fp8 v[200:203], a[108:109], v[156:157], v[200:203]// 00000000C548: D3F300C8 0F23396C
	v_mfma_f32_16x16x32_fp8_fp8 v[200:203], a[110:111], v[158:159], v[200:203]// 00000000C550: D3F300C8 0F233D6E
	v_mfma_f32_16x16x32_fp8_fp8 v[204:207], a[112:113], v[144:145], 0// 00000000C558: D3F300CC 0A032170
	v_mfma_f32_16x16x32_fp8_fp8 v[204:207], a[114:115], v[146:147], v[204:207]// 00000000C560: D3F300CC 0F332572
	v_mfma_f32_16x16x32_fp8_fp8 v[204:207], a[116:117], v[148:149], v[204:207]// 00000000C568: D3F300CC 0F332974
	v_mfma_f32_16x16x32_fp8_fp8 v[204:207], a[118:119], v[150:151], v[204:207]// 00000000C570: D3F300CC 0F332D76
	v_mfma_f32_16x16x32_fp8_fp8 v[204:207], a[120:121], v[152:153], v[204:207]// 00000000C578: D3F300CC 0F333178
	v_mfma_f32_16x16x32_fp8_fp8 v[204:207], a[122:123], v[154:155], v[204:207]// 00000000C580: D3F300CC 0F33357A
	v_mfma_f32_16x16x32_fp8_fp8 v[204:207], a[124:125], v[156:157], v[204:207]// 00000000C588: D3F300CC 0F33397C
	v_mfma_f32_16x16x32_fp8_fp8 v[204:207], a[126:127], v[158:159], v[204:207]// 00000000C590: D3F300CC 0F333D7E
	v_add_u32_e32 v1, s56, v1                                  // 00000000C598: 68020238
	s_addk_i32 s70, 0x100                                      // 00000000C59C: B7460100
	s_cmp_lt_i32 s70, s71                                      // 00000000C5A0: BF044746
	s_cbranch_scc0 label_28EB                                  // 00000000C5A4: BF840001
	s_branch label_206E                                        // 00000000C5A8: BF82F783

000000000000c5ac <label_28EB>:
	s_nop 0                                                    // 00000000C5AC: BF800000
	s_nop 0                                                    // 00000000C5B0: BF800000
	s_branch label_316B                                        // 00000000C5B4: BF82087D

000000000000c5b8 <label_28EE>:
	s_waitcnt vmcnt(8) lgkmcnt(0)                              // 00000000C5B8: BF8C0078
	v_mul_u32_u24_dpp v41, v20, v68 row_newbcast:0 row_mask:0xf bank_mask:0xf// 00000000C5BC: 105288FA FF015014
	v_mul_u32_u24_dpp v42, v20, v68 row_newbcast:4 row_mask:0xf bank_mask:0xf// 00000000C5C4: 105488FA FF015414
	v_mul_u32_u24_dpp v43, v20, v68 row_newbcast:8 row_mask:0xf bank_mask:0xf// 00000000C5CC: 105688FA FF015814
	v_mul_u32_u24_dpp v44, v20, v68 row_newbcast:12 row_mask:0xf bank_mask:0xf// 00000000C5D4: 105888FA FF015C14
	v_add_u32_e32 v29, v41, v6                                 // 00000000C5DC: 683A0D29
	v_add_u32_e32 v30, v42, v6                                 // 00000000C5E0: 683C0D2A
	v_add_u32_e32 v31, v43, v6                                 // 00000000C5E4: 683E0D2B
	v_add_u32_e32 v32, v44, v6                                 // 00000000C5E8: 68400D2C
	v_mul_u32_u24_dpp v41, v20, v78 quad_perm:[0,0,0,0] row_mask:0xf bank_mask:0xf// 00000000C5EC: 10529CFA FF000014
	v_add_u32_e32 v3, v41, v74                                 // 00000000C5F4: 68069529
	v_mul_u32_u24_dpp v41, v20, v78 quad_perm:[0,0,0,0] row_mask:0xf bank_mask:0xf// 00000000C5F8: 10529CFA FF000014
	v_add_u32_e32 v71, v41, v75                                // 00000000C600: 688E9729
	v_mfma_f32_16x16x32_fp8_fp8 v[128:131], a[0:1], v[96:97], 0// 00000000C604: D3F30080 0A02C100
	buffer_load_dwordx4 a[32:35], v29, s[16:19], 0 offen       // 00000000C60C: E05C1000 8084201D
	v_mfma_f32_16x16x32_fp8_fp8 v[128:131], a[2:3], v[98:99], v[128:131]// 00000000C614: D3F30080 0E02C502
	v_mfma_f32_16x16x32_fp8_fp8 v[128:131], a[4:5], v[100:101], v[128:131]// 00000000C61C: D3F30080 0E02C904
	buffer_load_dword v19, v1, s[24:27], 0 offen               // 00000000C624: E0501000 80061301
	v_mfma_f32_16x16x32_fp8_fp8 v[128:131], a[6:7], v[102:103], v[128:131]// 00000000C62C: D3F30080 0E02CD06
	v_mfma_f32_16x16x32_fp8_fp8 v[132:135], a[8:9], v[96:97], 0// 00000000C634: D3F30084 0A02C108
	buffer_load_dwordx4 a[36:39], v29, s[16:19], 0 offen offset:1024// 00000000C63C: E05C1400 8084241D
	v_mfma_f32_16x16x32_fp8_fp8 v[132:135], a[10:11], v[98:99], v[132:135]// 00000000C644: D3F30084 0E12C50A
	v_mfma_f32_16x16x32_fp8_fp8 v[132:135], a[12:13], v[100:101], v[132:135]// 00000000C64C: D3F30084 0E12C90C
	v_mfma_f32_16x16x32_fp8_fp8 v[132:135], a[14:15], v[102:103], v[132:135]// 00000000C654: D3F30084 0E12CD0E
	v_mfma_f32_16x16x32_fp8_fp8 v[136:139], a[16:17], v[96:97], 0// 00000000C65C: D3F30088 0A02C110
	buffer_load_dwordx4 a[40:43], v30, s[16:19], 0 offen       // 00000000C664: E05C1000 8084281E
	v_mfma_f32_16x16x32_fp8_fp8 v[136:139], a[18:19], v[98:99], v[136:139]// 00000000C66C: D3F30088 0E22C512
	v_mfma_f32_16x16x32_fp8_fp8 v[136:139], a[20:21], v[100:101], v[136:139]// 00000000C674: D3F30088 0E22C914
	v_mfma_f32_16x16x32_fp8_fp8 v[136:139], a[22:23], v[102:103], v[136:139]// 00000000C67C: D3F30088 0E22CD16
	v_mfma_f32_16x16x32_fp8_fp8 v[140:143], a[24:25], v[96:97], 0// 00000000C684: D3F3008C 0A02C118
	buffer_load_dwordx4 a[44:47], v30, s[16:19], 0 offen offset:1024// 00000000C68C: E05C1400 80842C1E
	v_mfma_f32_16x16x32_fp8_fp8 v[140:143], a[26:27], v[98:99], v[140:143]// 00000000C694: D3F3008C 0E32C51A
	v_mfma_f32_16x16x32_fp8_fp8 v[140:143], a[28:29], v[100:101], v[140:143]// 00000000C69C: D3F3008C 0E32C91C
	v_mfma_f32_16x16x32_fp8_fp8 v[140:143], a[30:31], v[102:103], v[140:143]// 00000000C6A4: D3F3008C 0E32CD1E
	v_mfma_f32_16x16x32_fp8_fp8 v[144:147], a[0:1], v[104:105], 0// 00000000C6AC: D3F30090 0A02D100
	v_mfma_f32_16x16x32_fp8_fp8 v[144:147], a[2:3], v[106:107], v[144:147]// 00000000C6B4: D3F30090 0E42D502
	v_mfma_f32_16x16x32_fp8_fp8 v[144:147], a[4:5], v[108:109], v[144:147]// 00000000C6BC: D3F30090 0E42D904
	v_mfma_f32_16x16x32_fp8_fp8 v[144:147], a[6:7], v[110:111], v[144:147]// 00000000C6C4: D3F30090 0E42DD06
	v_mfma_f32_16x16x32_fp8_fp8 v[148:151], a[8:9], v[104:105], 0// 00000000C6CC: D3F30094 0A02D108
	v_mfma_f32_16x16x32_fp8_fp8 v[148:151], a[10:11], v[106:107], v[148:151]// 00000000C6D4: D3F30094 0E52D50A
	v_mfma_f32_16x16x32_fp8_fp8 v[148:151], a[12:13], v[108:109], v[148:151]// 00000000C6DC: D3F30094 0E52D90C
	v_mfma_f32_16x16x32_fp8_fp8 v[148:151], a[14:15], v[110:111], v[148:151]// 00000000C6E4: D3F30094 0E52DD0E
	v_mfma_f32_16x16x32_fp8_fp8 v[152:155], a[16:17], v[104:105], 0// 00000000C6EC: D3F30098 0A02D110
	v_mfma_f32_16x16x32_fp8_fp8 v[152:155], a[18:19], v[106:107], v[152:155]// 00000000C6F4: D3F30098 0E62D512
	v_mfma_f32_16x16x32_fp8_fp8 v[152:155], a[20:21], v[108:109], v[152:155]// 00000000C6FC: D3F30098 0E62D914
	v_mfma_f32_16x16x32_fp8_fp8 v[152:155], a[22:23], v[110:111], v[152:155]// 00000000C704: D3F30098 0E62DD16
	v_mfma_f32_16x16x32_fp8_fp8 v[156:159], a[24:25], v[104:105], 0// 00000000C70C: D3F3009C 0A02D118
	v_mfma_f32_16x16x32_fp8_fp8 v[156:159], a[26:27], v[106:107], v[156:159]// 00000000C714: D3F3009C 0E72D51A
	v_mfma_f32_16x16x32_fp8_fp8 v[156:159], a[28:29], v[108:109], v[156:159]// 00000000C71C: D3F3009C 0E72D91C
	v_mfma_f32_16x16x32_fp8_fp8 v[156:159], a[30:31], v[110:111], v[156:159]// 00000000C724: D3F3009C 0E72DD1E
	buffer_load_dword v53, v3, s[32:35], 0 offen               // 00000000C72C: E0501000 80083503
	v_mov_b32_dpp v41, v52 row_shr:4 row_mask:0xf bank_mask:0xf// 00000000C734: 7E5202FA FF011434
	v_mov_b32_dpp v42, v52 row_shl:4 row_mask:0xf bank_mask:0xf// 00000000C73C: 7E5402FA FF010434
	v_cndmask_b32_e64 v248, v52, v41, s[44:45]                 // 00000000C744: D10000F8 00B25334
	v_cndmask_b32_e64 v249, v42, v52, s[44:45]                 // 00000000C74C: D10000F9 00B2692A
	v_mov_b32_dpp v41, v248 row_shr:8 row_mask:0xf bank_mask:0xf// 00000000C754: 7E5202FA FF0118F8
	v_mov_b32_dpp v42, v248 row_shl:8 row_mask:0xf bank_mask:0xf// 00000000C75C: 7E5402FA FF0108F8
	v_mov_b32_dpp v43, v249 row_shr:8 row_mask:0xf bank_mask:0xf// 00000000C764: 7E5602FA FF0118F9
	v_mov_b32_dpp v44, v249 row_shl:8 row_mask:0xf bank_mask:0xf// 00000000C76C: 7E5802FA FF0108F9
	v_mov_b32_e32 v45, v248                                    // 00000000C774: 7E5A03F8
	v_mov_b32_e32 v46, v249                                    // 00000000C778: 7E5C03F9
	v_cndmask_b32_e64 v248, v45, v41, s[42:43]                 // 00000000C77C: D10000F8 00AA532D
	v_cndmask_b32_e64 v250, v45, v42, s[78:79]                 // 00000000C784: D10000FA 013A552D
	v_cndmask_b32_e64 v249, v46, v43, s[42:43]                 // 00000000C78C: D10000F9 00AA572E
	v_cndmask_b32_e64 v251, v46, v44, s[78:79]                 // 00000000C794: D10000FB 013A592E
	v_mov_b32_dpp v41, v72 row_shr:4 row_mask:0xf bank_mask:0xf// 00000000C79C: 7E5202FA FF011448
	v_mov_b32_dpp v42, v72 row_shl:4 row_mask:0xf bank_mask:0xf// 00000000C7A4: 7E5402FA FF010448
	v_cndmask_b32_e64 v252, v72, v41, s[44:45]                 // 00000000C7AC: D10000FC 00B25348
	v_cndmask_b32_e64 v253, v42, v72, s[44:45]                 // 00000000C7B4: D10000FD 00B2912A
	v_mov_b32_dpp v41, v252 row_shr:8 row_mask:0xf bank_mask:0xf// 00000000C7BC: 7E5202FA FF0118FC
	v_mov_b32_dpp v42, v252 row_shl:8 row_mask:0xf bank_mask:0xf// 00000000C7C4: 7E5402FA FF0108FC
	v_mov_b32_dpp v43, v253 row_shr:8 row_mask:0xf bank_mask:0xf// 00000000C7CC: 7E5602FA FF0118FD
	v_mov_b32_dpp v44, v253 row_shl:8 row_mask:0xf bank_mask:0xf// 00000000C7D4: 7E5802FA FF0108FD
	v_mov_b32_e32 v45, v252                                    // 00000000C7DC: 7E5A03FC
	v_mov_b32_e32 v46, v253                                    // 00000000C7E0: 7E5C03FD
	v_cndmask_b32_e64 v252, v45, v41, s[42:43]                 // 00000000C7E4: D10000FC 00AA532D
	v_cndmask_b32_e64 v254, v45, v42, s[78:79]                 // 00000000C7EC: D10000FE 013A552D
	v_cndmask_b32_e64 v253, v46, v43, s[42:43]                 // 00000000C7F4: D10000FD 00AA572E
	v_cndmask_b32_e64 v255, v46, v44, s[78:79]                 // 00000000C7FC: D10000FF 013A592E
	buffer_load_dword v73, v71, s[36:39], 0 offen              // 00000000C804: E0501000 80094947
	v_mul_f32_e32 v128, v54, v128                              // 00000000C80C: 0B010136
	v_mul_f32_e32 v129, v54, v129                              // 00000000C810: 0B030336
	v_mul_f32_e32 v130, v54, v130                              // 00000000C814: 0B050536
	v_mul_f32_e32 v131, v54, v131                              // 00000000C818: 0B070736
	v_mul_f32_e32 v132, v54, v132                              // 00000000C81C: 0B090936
	v_mul_f32_e32 v133, v54, v133                              // 00000000C820: 0B0B0B36
	v_mul_f32_e32 v134, v54, v134                              // 00000000C824: 0B0D0D36
	v_mul_f32_e32 v135, v54, v135                              // 00000000C828: 0B0F0F36
	v_mul_f32_e32 v136, v54, v136                              // 00000000C82C: 0B111136
	v_mul_f32_e32 v137, v54, v137                              // 00000000C830: 0B131336
	v_mul_f32_e32 v138, v54, v138                              // 00000000C834: 0B151536
	v_mul_f32_e32 v139, v54, v139                              // 00000000C838: 0B171736
	v_mul_f32_e32 v140, v54, v140                              // 00000000C83C: 0B191936
	v_mul_f32_e32 v141, v54, v141                              // 00000000C840: 0B1B1B36
	v_mul_f32_e32 v142, v54, v142                              // 00000000C844: 0B1D1D36
	v_mul_f32_e32 v143, v54, v143                              // 00000000C848: 0B1F1F36
	buffer_load_dwordx4 a[48:51], v31, s[16:19], 0 offen       // 00000000C84C: E05C1000 8084301F
	v_mul_f32_dpp v128, v248, v128 quad_perm:[0,0,0,0] row_mask:0xf bank_mask:0xf// 00000000C854: 0B0100FA FF0000F8
	v_mul_f32_dpp v129, v248, v129 quad_perm:[1,1,1,1] row_mask:0xf bank_mask:0xf// 00000000C85C: 0B0302FA FF0055F8
	v_mul_f32_dpp v130, v248, v130 quad_perm:[2,2,2,2] row_mask:0xf bank_mask:0xf// 00000000C864: 0B0504FA FF00AAF8
	v_mul_f32_dpp v131, v248, v131 quad_perm:[3,3,3,3] row_mask:0xf bank_mask:0xf// 00000000C86C: 0B0706FA FF00FFF8
	v_mul_f32_dpp v132, v249, v132 quad_perm:[0,0,0,0] row_mask:0xf bank_mask:0xf// 00000000C874: 0B0908FA FF0000F9
	v_mul_f32_dpp v133, v249, v133 quad_perm:[1,1,1,1] row_mask:0xf bank_mask:0xf// 00000000C87C: 0B0B0AFA FF0055F9
	v_mul_f32_dpp v134, v249, v134 quad_perm:[2,2,2,2] row_mask:0xf bank_mask:0xf// 00000000C884: 0B0D0CFA FF00AAF9
	v_mul_f32_dpp v135, v249, v135 quad_perm:[3,3,3,3] row_mask:0xf bank_mask:0xf// 00000000C88C: 0B0F0EFA FF00FFF9
	v_mul_f32_dpp v136, v250, v136 quad_perm:[0,0,0,0] row_mask:0xf bank_mask:0xf// 00000000C894: 0B1110FA FF0000FA
	v_mul_f32_dpp v137, v250, v137 quad_perm:[1,1,1,1] row_mask:0xf bank_mask:0xf// 00000000C89C: 0B1312FA FF0055FA
	v_mul_f32_dpp v138, v250, v138 quad_perm:[2,2,2,2] row_mask:0xf bank_mask:0xf// 00000000C8A4: 0B1514FA FF00AAFA
	v_mul_f32_dpp v139, v250, v139 quad_perm:[3,3,3,3] row_mask:0xf bank_mask:0xf// 00000000C8AC: 0B1716FA FF00FFFA
	v_mul_f32_dpp v140, v251, v140 quad_perm:[0,0,0,0] row_mask:0xf bank_mask:0xf// 00000000C8B4: 0B1918FA FF0000FB
	v_mul_f32_dpp v141, v251, v141 quad_perm:[1,1,1,1] row_mask:0xf bank_mask:0xf// 00000000C8BC: 0B1B1AFA FF0055FB
	v_mul_f32_dpp v142, v251, v142 quad_perm:[2,2,2,2] row_mask:0xf bank_mask:0xf// 00000000C8C4: 0B1D1CFA FF00AAFB
	v_mul_f32_dpp v143, v251, v143 quad_perm:[3,3,3,3] row_mask:0xf bank_mask:0xf// 00000000C8CC: 0B1F1EFA FF00FFFB
	buffer_load_dwordx4 a[52:55], v31, s[16:19], 0 offen offset:1024// 00000000C8D4: E05C1400 8084341F
	v_mov_b32_e32 v62, v128                                    // 00000000C8DC: 7E7C0380
	v_max3_f32 v62, v128, v129, v62                            // 00000000C8E0: D1D3003E 04FB0380
	v_max3_f32 v62, v130, v131, v62                            // 00000000C8E8: D1D3003E 04FB0782
	v_max3_f32 v62, v132, v133, v62                            // 00000000C8F0: D1D3003E 04FB0B84
	v_max3_f32 v62, v134, v135, v62                            // 00000000C8F8: D1D3003E 04FB0F86
	v_max3_f32 v62, v136, v137, v62                            // 00000000C900: D1D3003E 04FB1388
	v_max3_f32 v62, v138, v139, v62                            // 00000000C908: D1D3003E 04FB178A
	v_max3_f32 v62, v140, v141, v62                            // 00000000C910: D1D3003E 04FB1B8C
	v_max3_f32 v62, v142, v143, v62                            // 00000000C918: D1D3003E 04FB1F8E
	ds_write_b32 v11, v62 offset:16896                         // 00000000C920: D81A4200 00003E0B
	buffer_load_dwordx4 a[56:59], v32, s[16:19], 0 offen       // 00000000C928: E05C1000 80843820
	v_mul_u32_u24_dpp v41, v20, v68 row_newbcast:1 row_mask:0xf bank_mask:0xf// 00000000C930: 105288FA FF015114
	v_mul_u32_u24_dpp v42, v20, v68 row_newbcast:5 row_mask:0xf bank_mask:0xf// 00000000C938: 105488FA FF015514
	v_mul_u32_u24_dpp v43, v20, v68 row_newbcast:9 row_mask:0xf bank_mask:0xf// 00000000C940: 105688FA FF015914
	v_mul_u32_u24_dpp v44, v20, v68 row_newbcast:13 row_mask:0xf bank_mask:0xf// 00000000C948: 105888FA FF015D14
	v_add_u32_e32 v37, v41, v7                                 // 00000000C950: 684A0F29
	v_add_u32_e32 v38, v42, v7                                 // 00000000C954: 684C0F2A
	v_add_u32_e32 v39, v43, v7                                 // 00000000C958: 684E0F2B
	v_add_u32_e32 v40, v44, v7                                 // 00000000C95C: 68500F2C
	v_mul_f32_e32 v224, v63, v224                              // 00000000C960: 0BC1C13F
	v_mul_f32_e32 v225, v63, v225                              // 00000000C964: 0BC3C33F
	v_mul_f32_e32 v226, v63, v226                              // 00000000C968: 0BC5C53F
	v_mul_f32_e32 v227, v63, v227                              // 00000000C96C: 0BC7C73F
	v_mul_f32_e32 v228, v63, v228                              // 00000000C970: 0BC9C93F
	v_mul_f32_e32 v229, v63, v229                              // 00000000C974: 0BCBCB3F
	v_mul_f32_e32 v230, v63, v230                              // 00000000C978: 0BCDCD3F
	v_mul_f32_e32 v231, v63, v231                              // 00000000C97C: 0BCFCF3F
	s_waitcnt lgkmcnt(0)                                       // 00000000C980: BF8CC07F
	s_barrier                                                  // 00000000C984: BF8A0000
	ds_read_b32 v80, v10 offset:16896                          // 00000000C988: D86C4200 5000000A
	ds_read_b32 v81, v10 offset:16960                          // 00000000C990: D86C4240 5100000A
	ds_read_b32 v82, v10 offset:17024                          // 00000000C998: D86C4280 5200000A
	ds_read_b32 v83, v10 offset:17088                          // 00000000C9A0: D86C42C0 5300000A
	ds_read_b32 v84, v10 offset:17152                          // 00000000C9A8: D86C4300 5400000A
	ds_read_b32 v85, v10 offset:17216                          // 00000000C9B0: D86C4340 5500000A
	ds_read_b32 v86, v10 offset:17280                          // 00000000C9B8: D86C4380 5600000A
	ds_read_b32 v87, v10 offset:17344                          // 00000000C9C0: D86C43C0 5700000A
	ds_read_b32 v88, v10 offset:17408                          // 00000000C9C8: D86C4400 5800000A
	ds_read_b32 v89, v10 offset:17472                          // 00000000C9D0: D86C4440 5900000A
	ds_read_b32 v90, v10 offset:17536                          // 00000000C9D8: D86C4480 5A00000A
	ds_read_b32 v91, v10 offset:17600                          // 00000000C9E0: D86C44C0 5B00000A
	ds_read_b32 v92, v10 offset:17664                          // 00000000C9E8: D86C4500 5C00000A
	ds_read_b32 v93, v10 offset:17728                          // 00000000C9F0: D86C4540 5D00000A
	ds_read_b32 v94, v10 offset:17792                          // 00000000C9F8: D86C4580 5E00000A
	ds_read_b32 v95, v10 offset:17856                          // 00000000CA00: D86C45C0 5F00000A
	buffer_load_dwordx4 a[60:63], v32, s[16:19], 0 offen offset:1024// 00000000CA08: E05C1400 80843C20
	v_mul_f32_e32 v192, v58, v192                              // 00000000CA10: 0B81813A
	v_mul_f32_e32 v193, v58, v193                              // 00000000CA14: 0B83833A
	v_mul_f32_e32 v194, v58, v194                              // 00000000CA18: 0B85853A
	v_mul_f32_e32 v195, v58, v195                              // 00000000CA1C: 0B87873A
	v_mul_f32_e32 v196, v58, v196                              // 00000000CA20: 0B89893A
	v_mul_f32_e32 v197, v58, v197                              // 00000000CA24: 0B8B8B3A
	v_mul_f32_e32 v198, v58, v198                              // 00000000CA28: 0B8D8D3A
	v_mul_f32_e32 v199, v58, v199                              // 00000000CA2C: 0B8F8F3A
	s_waitcnt lgkmcnt(0)                                       // 00000000CA30: BF8CC07F
	v_max3_f32 v62, v80, v81, v62                              // 00000000CA34: D1D3003E 04FAA350
	v_max3_f32 v62, v82, v83, v62                              // 00000000CA3C: D1D3003E 04FAA752
	v_max3_f32 v62, v84, v85, v62                              // 00000000CA44: D1D3003E 04FAAB54
	v_max3_f32 v62, v86, v87, v62                              // 00000000CA4C: D1D3003E 04FAAF56
	v_max3_f32 v62, v88, v89, v62                              // 00000000CA54: D1D3003E 04FAB358
	v_max3_f32 v62, v90, v91, v62                              // 00000000CA5C: D1D3003E 04FAB75A
	v_max3_f32 v62, v92, v93, v62                              // 00000000CA64: D1D3003E 04FABB5C
	v_max3_f32 v62, v94, v95, v62                              // 00000000CA6C: D1D3003E 04FABF5E
	buffer_load_dwordx4 a[96:99], v37, s[20:23], 0 offen       // 00000000CA74: E05C1000 80856025
	v_mov_b32_e32 v41, 0xff800000                              // 00000000CA7C: 7E5202FF FF800000
	v_cmp_eq_u32_e64 s[40:41], v41, v14                        // 00000000CA84: D0CA0028 00021D29
	s_nop 1                                                    // 00000000CA8C: BF800001
	v_max_f32_e32 v18, v62, v14                                // 00000000CA90: 16241D3E
	v_mul_f32_e32 v67, s64, v18                                // 00000000CA94: 0A862440
	v_fma_f32 v128, v128, s64, -v67                            // 00000000CA98: D1CB0080 850C8180
	v_fma_f32 v129, v129, s64, -v67                            // 00000000CAA0: D1CB0081 850C8181
	v_fma_f32 v130, v130, s64, -v67                            // 00000000CAA8: D1CB0082 850C8182
	v_fma_f32 v131, v131, s64, -v67                            // 00000000CAB0: D1CB0083 850C8183
	v_fma_f32 v132, v132, s64, -v67                            // 00000000CAB8: D1CB0084 850C8184
	v_fma_f32 v133, v133, s64, -v67                            // 00000000CAC0: D1CB0085 850C8185
	v_fma_f32 v134, v134, s64, -v67                            // 00000000CAC8: D1CB0086 850C8186
	v_fma_f32 v135, v135, s64, -v67                            // 00000000CAD0: D1CB0087 850C8187
	v_fma_f32 v136, v136, s64, -v67                            // 00000000CAD8: D1CB0088 850C8188
	v_fma_f32 v137, v137, s64, -v67                            // 00000000CAE0: D1CB0089 850C8189
	v_fma_f32 v138, v138, s64, -v67                            // 00000000CAE8: D1CB008A 850C818A
	v_fma_f32 v139, v139, s64, -v67                            // 00000000CAF0: D1CB008B 850C818B
	v_fma_f32 v140, v140, s64, -v67                            // 00000000CAF8: D1CB008C 850C818C
	v_fma_f32 v141, v141, s64, -v67                            // 00000000CB00: D1CB008D 850C818D
	v_fma_f32 v142, v142, s64, -v67                            // 00000000CB08: D1CB008E 850C818E
	v_fma_f32 v143, v143, s64, -v67                            // 00000000CB10: D1CB008F 850C818F
	buffer_load_dwordx4 a[100:103], v38, s[20:23], 0 offen     // 00000000CB18: E05C1000 80856426
	v_exp_f32_e32 v128, v128                                   // 00000000CB20: 7F004180
	v_exp_f32_e32 v129, v129                                   // 00000000CB24: 7F024181
	v_exp_f32_e32 v130, v130                                   // 00000000CB28: 7F044182
	v_exp_f32_e32 v131, v131                                   // 00000000CB2C: 7F064183
	v_exp_f32_e32 v132, v132                                   // 00000000CB30: 7F084184
	v_exp_f32_e32 v133, v133                                   // 00000000CB34: 7F0A4185
	v_exp_f32_e32 v134, v134                                   // 00000000CB38: 7F0C4186
	v_exp_f32_e32 v135, v135                                   // 00000000CB3C: 7F0E4187
	v_exp_f32_e32 v136, v136                                   // 00000000CB40: 7F104188
	v_exp_f32_e32 v137, v137                                   // 00000000CB44: 7F124189
	v_exp_f32_e32 v138, v138                                   // 00000000CB48: 7F14418A
	v_exp_f32_e32 v139, v139                                   // 00000000CB4C: 7F16418B
	v_exp_f32_e32 v140, v140                                   // 00000000CB50: 7F18418C
	v_exp_f32_e32 v141, v141                                   // 00000000CB54: 7F1A418D
	v_exp_f32_e32 v142, v142                                   // 00000000CB58: 7F1C418E
	v_exp_f32_e32 v143, v143                                   // 00000000CB5C: 7F1E418F
	buffer_load_dwordx4 a[104:107], v39, s[20:23], 0 offen     // 00000000CB60: E05C1000 80856827
	v_mul_f32_dpp v240, v252, v128 quad_perm:[0,0,0,0] row_mask:0xf bank_mask:0xf// 00000000CB68: 0BE100FA FF0000FC
	v_mul_f32_dpp v241, v252, v129 quad_perm:[1,1,1,1] row_mask:0xf bank_mask:0xf// 00000000CB70: 0BE302FA FF0055FC
	v_mul_f32_dpp v242, v252, v130 quad_perm:[2,2,2,2] row_mask:0xf bank_mask:0xf// 00000000CB78: 0BE504FA FF00AAFC
	v_mul_f32_dpp v243, v252, v131 quad_perm:[3,3,3,3] row_mask:0xf bank_mask:0xf// 00000000CB80: 0BE706FA FF00FFFC
	v_mul_f32_dpp v244, v253, v132 quad_perm:[0,0,0,0] row_mask:0xf bank_mask:0xf// 00000000CB88: 0BE908FA FF0000FD
	v_mul_f32_dpp v245, v253, v133 quad_perm:[1,1,1,1] row_mask:0xf bank_mask:0xf// 00000000CB90: 0BEB0AFA FF0055FD
	v_mul_f32_dpp v246, v253, v134 quad_perm:[2,2,2,2] row_mask:0xf bank_mask:0xf// 00000000CB98: 0BED0CFA FF00AAFD
	v_mul_f32_dpp v247, v253, v135 quad_perm:[3,3,3,3] row_mask:0xf bank_mask:0xf// 00000000CBA0: 0BEF0EFA FF00FFFD
	v_mul_f32_dpp v248, v254, v136 quad_perm:[0,0,0,0] row_mask:0xf bank_mask:0xf// 00000000CBA8: 0BF110FA FF0000FE
	v_mul_f32_dpp v249, v254, v137 quad_perm:[1,1,1,1] row_mask:0xf bank_mask:0xf// 00000000CBB0: 0BF312FA FF0055FE
	v_mul_f32_dpp v250, v254, v138 quad_perm:[2,2,2,2] row_mask:0xf bank_mask:0xf// 00000000CBB8: 0BF514FA FF00AAFE
	v_mul_f32_dpp v251, v254, v139 quad_perm:[3,3,3,3] row_mask:0xf bank_mask:0xf// 00000000CBC0: 0BF716FA FF00FFFE
	v_mul_f32_dpp v252, v255, v140 quad_perm:[0,0,0,0] row_mask:0xf bank_mask:0xf// 00000000CBC8: 0BF918FA FF0000FF
	v_mul_f32_dpp v253, v255, v141 quad_perm:[1,1,1,1] row_mask:0xf bank_mask:0xf// 00000000CBD0: 0BFB1AFA FF0055FF
	v_mul_f32_dpp v254, v255, v142 quad_perm:[2,2,2,2] row_mask:0xf bank_mask:0xf// 00000000CBD8: 0BFD1CFA FF00AAFF
	v_mul_f32_dpp v255, v255, v143 quad_perm:[3,3,3,3] row_mask:0xf bank_mask:0xf// 00000000CBE0: 0BFF1EFA FF00FFFF
	v_mov_b32_e32 v62, 0x358637bd                              // 00000000CBE8: 7E7C02FF 358637BD
	v_max3_f32 v62, |v240|, |v241|, v62                        // 00000000CBF0: D1D3033E 04FBE3F0
	v_max3_f32 v62, |v242|, |v243|, v62                        // 00000000CBF8: D1D3033E 04FBE7F2
	v_max3_f32 v62, |v244|, |v245|, v62                        // 00000000CC00: D1D3033E 04FBEBF4
	v_max3_f32 v62, |v246|, |v247|, v62                        // 00000000CC08: D1D3033E 04FBEFF6
	v_max3_f32 v62, |v248|, |v249|, v62                        // 00000000CC10: D1D3033E 04FBF3F8
	v_max3_f32 v62, |v250|, |v251|, v62                        // 00000000CC18: D1D3033E 04FBF7FA
	v_max3_f32 v62, |v252|, |v253|, v62                        // 00000000CC20: D1D3033E 04FBFBFC
	v_max3_f32 v62, |v254|, |v255|, v62                        // 00000000CC28: D1D3033E 04FBFFFE
	buffer_load_dwordx4 a[108:111], v40, s[20:23], 0 offen     // 00000000CC30: E05C1000 80856C28
	ds_write_b32 v11, v62 offset:20992                         // 00000000CC38: D81A5200 00003E0B
	v_sub_f32_e32 v63, v14, v18                                // 00000000CC40: 047E250E
	v_cndmask_b32_e64 v63, v63, 0, s[40:41]                    // 00000000CC44: D100003F 00A1013F
	v_mov_b32_e32 v14, v18                                     // 00000000CC4C: 7E1C0312
	v_mul_f32_e32 v63, s64, v63                                // 00000000CC50: 0A7E7E40
	v_exp_f32_e32 v63, v63                                     // 00000000CC54: 7E7E413F
	s_waitcnt lgkmcnt(0)                                       // 00000000CC58: BF8CC07F
	s_barrier                                                  // 00000000CC5C: BF8A0000
	ds_read_b32 v80, v10 offset:20992                          // 00000000CC60: D86C5200 5000000A
	ds_read_b32 v81, v10 offset:21056                          // 00000000CC68: D86C5240 5100000A
	ds_read_b32 v82, v10 offset:21120                          // 00000000CC70: D86C5280 5200000A
	ds_read_b32 v83, v10 offset:21184                          // 00000000CC78: D86C52C0 5300000A
	ds_read_b32 v84, v10 offset:21248                          // 00000000CC80: D86C5300 5400000A
	ds_read_b32 v85, v10 offset:21312                          // 00000000CC88: D86C5340 5500000A
	ds_read_b32 v86, v10 offset:21376                          // 00000000CC90: D86C5380 5600000A
	ds_read_b32 v87, v10 offset:21440                          // 00000000CC98: D86C53C0 5700000A
	ds_read_b32 v88, v10 offset:21504                          // 00000000CCA0: D86C5400 5800000A
	ds_read_b32 v89, v10 offset:21568                          // 00000000CCA8: D86C5440 5900000A
	ds_read_b32 v90, v10 offset:21632                          // 00000000CCB0: D86C5480 5A00000A
	ds_read_b32 v91, v10 offset:21696                          // 00000000CCB8: D86C54C0 5B00000A
	ds_read_b32 v92, v10 offset:21760                          // 00000000CCC0: D86C5500 5C00000A
	ds_read_b32 v93, v10 offset:21824                          // 00000000CCC8: D86C5540 5D00000A
	ds_read_b32 v94, v10 offset:21888                          // 00000000CCD0: D86C5580 5E00000A
	ds_read_b32 v95, v10 offset:21952                          // 00000000CCD8: D86C55C0 5F00000A
	v_mul_f32_e32 v47, v63, v47                                // 00000000CCE0: 0A5E5F3F
	v_mov_b32_e32 v18, v128                                    // 00000000CCE4: 7E240380
	v_add_f32_e32 v18, v129, v18                               // 00000000CCE8: 02242581
	v_add_f32_e32 v18, v130, v18                               // 00000000CCEC: 02242582
	v_add_f32_e32 v18, v131, v18                               // 00000000CCF0: 02242583
	v_add_f32_e32 v18, v132, v18                               // 00000000CCF4: 02242584
	v_add_f32_e32 v18, v133, v18                               // 00000000CCF8: 02242585
	v_add_f32_e32 v18, v134, v18                               // 00000000CCFC: 02242586
	v_add_f32_e32 v18, v135, v18                               // 00000000CD00: 02242587
	v_add_f32_e32 v18, v136, v18                               // 00000000CD04: 02242588
	v_add_f32_e32 v18, v137, v18                               // 00000000CD08: 02242589
	v_add_f32_e32 v18, v138, v18                               // 00000000CD0C: 0224258A
	v_add_f32_e32 v18, v139, v18                               // 00000000CD10: 0224258B
	v_add_f32_e32 v18, v140, v18                               // 00000000CD14: 0224258C
	v_add_f32_e32 v18, v141, v18                               // 00000000CD18: 0224258D
	v_add_f32_e32 v18, v142, v18                               // 00000000CD1C: 0224258E
	v_add_f32_e32 v18, v143, v18                               // 00000000CD20: 0224258F
	v_add_f32_e32 v47, v18, v47                                // 00000000CD24: 025E5F12
	s_waitcnt lgkmcnt(0)                                       // 00000000CD28: BF8CC07F
	v_max3_f32 v62, |v80|, |v81|, v62                          // 00000000CD2C: D1D3033E 04FAA350
	v_max3_f32 v62, |v82|, |v83|, v62                          // 00000000CD34: D1D3033E 04FAA752
	v_max3_f32 v62, |v84|, |v85|, v62                          // 00000000CD3C: D1D3033E 04FAAB54
	v_max3_f32 v62, |v86|, |v87|, v62                          // 00000000CD44: D1D3033E 04FAAF56
	v_max3_f32 v62, |v88|, |v89|, v62                          // 00000000CD4C: D1D3033E 04FAB358
	v_max3_f32 v62, |v90|, |v91|, v62                          // 00000000CD54: D1D3033E 04FAB75A
	v_max3_f32 v62, |v92|, |v93|, v62                          // 00000000CD5C: D1D3033E 04FABB5C
	v_max3_f32 v62, |v94|, |v95|, v62                          // 00000000CD64: D1D3033E 04FABF5E
	s_nop 2                                                    // 00000000CD6C: BF800002
	v_rcp_f32_e32 v62, v62                                     // 00000000CD70: 7E7C453E
	s_nop 1                                                    // 00000000CD74: BF800001
	v_mul_f32_e32 v62, 0x43700000, v62                         // 00000000CD78: 0A7C7CFF 43700000
	v_mul_f32_e32 v128, v62, v240                              // 00000000CD80: 0B01E13E
	v_mul_f32_e32 v129, v62, v241                              // 00000000CD84: 0B03E33E
	v_mul_f32_e32 v130, v62, v242                              // 00000000CD88: 0B05E53E
	v_mul_f32_e32 v131, v62, v243                              // 00000000CD8C: 0B07E73E
	v_mul_f32_e32 v132, v62, v244                              // 00000000CD90: 0B09E93E
	v_mul_f32_e32 v133, v62, v245                              // 00000000CD94: 0B0BEB3E
	v_mul_f32_e32 v134, v62, v246                              // 00000000CD98: 0B0DED3E
	v_mul_f32_e32 v135, v62, v247                              // 00000000CD9C: 0B0FEF3E
	v_mul_f32_e32 v136, v62, v248                              // 00000000CDA0: 0B11F13E
	v_mul_f32_e32 v137, v62, v249                              // 00000000CDA4: 0B13F33E
	v_mul_f32_e32 v138, v62, v250                              // 00000000CDA8: 0B15F53E
	v_mul_f32_e32 v139, v62, v251                              // 00000000CDAC: 0B17F73E
	v_mul_f32_e32 v140, v62, v252                              // 00000000CDB0: 0B19F93E
	v_mul_f32_e32 v141, v62, v253                              // 00000000CDB4: 0B1BFB3E
	v_mul_f32_e32 v142, v62, v254                              // 00000000CDB8: 0B1DFD3E
	v_mul_f32_e32 v143, v62, v255                              // 00000000CDBC: 0B1FFF3E
	v_cvt_pk_fp8_f32 v128, v128, v129                          // 00000000CDC0: D2A20080 00030380
	v_cvt_pk_fp8_f32 v128, v130, v131 op_sel:[0,0,1]           // 00000000CDC8: D2A24080 00030782
	v_cvt_pk_fp8_f32 v129, v132, v133                          // 00000000CDD0: D2A20081 00030B84
	v_cvt_pk_fp8_f32 v129, v134, v135 op_sel:[0,0,1]           // 00000000CDD8: D2A24081 00030F86
	v_cvt_pk_fp8_f32 v130, v136, v137                          // 00000000CDE0: D2A20082 00031388
	v_cvt_pk_fp8_f32 v130, v138, v139 op_sel:[0,0,1]           // 00000000CDE8: D2A24082 0003178A
	v_cvt_pk_fp8_f32 v131, v140, v141                          // 00000000CDF0: D2A20083 00031B8C
	v_cvt_pk_fp8_f32 v131, v142, v143 op_sel:[0,0,1]           // 00000000CDF8: D2A24083 00031F8E
	ds_write_b32 v13, v128 offset:25088                        // 00000000CE00: D81A6200 0000800D
	ds_write_b32 v13, v129 offset:26112                        // 00000000CE08: D81A6600 0000810D
	ds_write_b32 v13, v130 offset:27136                        // 00000000CE10: D81A6A00 0000820D
	ds_write_b32 v13, v131 offset:28160                        // 00000000CE18: D81A6E00 0000830D
	v_add_f32_e32 v224, v224, v192                             // 00000000CE20: 03C181E0
	v_add_f32_e32 v225, v225, v193                             // 00000000CE24: 03C383E1
	v_add_f32_e32 v226, v226, v194                             // 00000000CE28: 03C585E2
	v_add_f32_e32 v227, v227, v195                             // 00000000CE2C: 03C787E3
	v_add_f32_e32 v228, v228, v196                             // 00000000CE30: 03C989E4
	v_add_f32_e32 v229, v229, v197                             // 00000000CE34: 03CB8BE5
	v_add_f32_e32 v230, v230, v198                             // 00000000CE38: 03CD8DE6
	v_add_f32_e32 v231, v231, v199                             // 00000000CE3C: 03CF8FE7
	v_rcp_f32_e32 v58, v62                                     // 00000000CE40: 7E74453E
	s_waitcnt lgkmcnt(0)                                       // 00000000CE44: BF8CC07F
	s_barrier                                                  // 00000000CE48: BF8A0000
	ds_read_b64 v[128:129], v12 offset:25088                   // 00000000CE4C: D8EC6200 8000000C
	ds_read_b64 v[130:131], v12 offset:25216                   // 00000000CE54: D8EC6280 8200000C
	ds_read_b64 v[132:133], v12 offset:26112                   // 00000000CE5C: D8EC6600 8400000C
	ds_read_b64 v[134:135], v12 offset:26240                   // 00000000CE64: D8EC6680 8600000C
	ds_read_b64 v[136:137], v12 offset:27136                   // 00000000CE6C: D8EC6A00 8800000C
	ds_read_b64 v[138:139], v12 offset:27264                   // 00000000CE74: D8EC6A80 8A00000C
	ds_read_b64 v[140:141], v12 offset:28160                   // 00000000CE7C: D8EC6E00 8C00000C
	ds_read_b64 v[142:143], v12 offset:28288                   // 00000000CE84: D8EC6E80 8E00000C
	v_mov_b32_dpp v41, v52 row_shr:4 row_mask:0xf bank_mask:0xf// 00000000CE8C: 7E5202FA FF011434
	v_mov_b32_dpp v42, v52 row_shl:4 row_mask:0xf bank_mask:0xf// 00000000CE94: 7E5402FA FF010434
	v_cndmask_b32_e64 v248, v52, v41, s[44:45]                 // 00000000CE9C: D10000F8 00B25334
	v_cndmask_b32_e64 v249, v42, v52, s[44:45]                 // 00000000CEA4: D10000F9 00B2692A
	v_mov_b32_dpp v41, v248 row_shr:8 row_mask:0xf bank_mask:0xf// 00000000CEAC: 7E5202FA FF0118F8
	v_mov_b32_dpp v42, v248 row_shl:8 row_mask:0xf bank_mask:0xf// 00000000CEB4: 7E5402FA FF0108F8
	v_mov_b32_dpp v43, v249 row_shr:8 row_mask:0xf bank_mask:0xf// 00000000CEBC: 7E5602FA FF0118F9
	v_mov_b32_dpp v44, v249 row_shl:8 row_mask:0xf bank_mask:0xf// 00000000CEC4: 7E5802FA FF0108F9
	v_mov_b32_e32 v45, v248                                    // 00000000CECC: 7E5A03F8
	v_mov_b32_e32 v46, v249                                    // 00000000CED0: 7E5C03F9
	v_cndmask_b32_e64 v248, v45, v41, s[42:43]                 // 00000000CED4: D10000F8 00AA532D
	v_cndmask_b32_e64 v250, v45, v42, s[78:79]                 // 00000000CEDC: D10000FA 013A552D
	v_cndmask_b32_e64 v249, v46, v43, s[42:43]                 // 00000000CEE4: D10000F9 00AA572E
	v_cndmask_b32_e64 v251, v46, v44, s[78:79]                 // 00000000CEEC: D10000FB 013A592E
	v_mov_b32_dpp v41, v72 row_shr:4 row_mask:0xf bank_mask:0xf// 00000000CEF4: 7E5202FA FF011448
	v_mov_b32_dpp v42, v72 row_shl:4 row_mask:0xf bank_mask:0xf// 00000000CEFC: 7E5402FA FF010448
	v_cndmask_b32_e64 v252, v72, v41, s[44:45]                 // 00000000CF04: D10000FC 00B25348
	v_cndmask_b32_e64 v253, v42, v72, s[44:45]                 // 00000000CF0C: D10000FD 00B2912A
	v_mov_b32_dpp v41, v252 row_shr:8 row_mask:0xf bank_mask:0xf// 00000000CF14: 7E5202FA FF0118FC
	v_mov_b32_dpp v42, v252 row_shl:8 row_mask:0xf bank_mask:0xf// 00000000CF1C: 7E5402FA FF0108FC
	v_mov_b32_dpp v43, v253 row_shr:8 row_mask:0xf bank_mask:0xf// 00000000CF24: 7E5602FA FF0118FD
	v_mov_b32_dpp v44, v253 row_shl:8 row_mask:0xf bank_mask:0xf// 00000000CF2C: 7E5802FA FF0108FD
	v_mov_b32_e32 v45, v252                                    // 00000000CF34: 7E5A03FC
	v_mov_b32_e32 v46, v253                                    // 00000000CF38: 7E5C03FD
	v_cndmask_b32_e64 v252, v45, v41, s[42:43]                 // 00000000CF3C: D10000FC 00AA532D
	v_cndmask_b32_e64 v254, v45, v42, s[78:79]                 // 00000000CF44: D10000FE 013A552D
	v_cndmask_b32_e64 v253, v46, v43, s[42:43]                 // 00000000CF4C: D10000FD 00AA572E
	v_cndmask_b32_e64 v255, v46, v44, s[78:79]                 // 00000000CF54: D10000FF 013A592E
	v_mul_f32_e32 v144, v55, v144                              // 00000000CF5C: 0B212137
	v_mul_f32_e32 v145, v55, v145                              // 00000000CF60: 0B232337
	v_mul_f32_e32 v146, v55, v146                              // 00000000CF64: 0B252537
	v_mul_f32_e32 v147, v55, v147                              // 00000000CF68: 0B272737
	v_mul_f32_e32 v148, v55, v148                              // 00000000CF6C: 0B292937
	v_mul_f32_e32 v149, v55, v149                              // 00000000CF70: 0B2B2B37
	v_mul_f32_e32 v150, v55, v150                              // 00000000CF74: 0B2D2D37
	v_mul_f32_e32 v151, v55, v151                              // 00000000CF78: 0B2F2F37
	v_mul_f32_e32 v152, v55, v152                              // 00000000CF7C: 0B313137
	v_mul_f32_e32 v153, v55, v153                              // 00000000CF80: 0B333337
	v_mul_f32_e32 v154, v55, v154                              // 00000000CF84: 0B353537
	v_mul_f32_e32 v155, v55, v155                              // 00000000CF88: 0B373737
	v_mul_f32_e32 v156, v55, v156                              // 00000000CF8C: 0B393937
	v_mul_f32_e32 v157, v55, v157                              // 00000000CF90: 0B3B3B37
	v_mul_f32_e32 v158, v55, v158                              // 00000000CF94: 0B3D3D37
	v_mul_f32_e32 v159, v55, v159                              // 00000000CF98: 0B3F3F37
	v_mul_f32_dpp v144, v248, v144 quad_perm:[0,0,0,0] row_mask:0xf bank_mask:0xf// 00000000CF9C: 0B2120FA FF0000F8
	v_mul_f32_dpp v145, v248, v145 quad_perm:[1,1,1,1] row_mask:0xf bank_mask:0xf// 00000000CFA4: 0B2322FA FF0055F8
	v_mul_f32_dpp v146, v248, v146 quad_perm:[2,2,2,2] row_mask:0xf bank_mask:0xf// 00000000CFAC: 0B2524FA FF00AAF8
	v_mul_f32_dpp v147, v248, v147 quad_perm:[3,3,3,3] row_mask:0xf bank_mask:0xf// 00000000CFB4: 0B2726FA FF00FFF8
	v_mul_f32_dpp v148, v249, v148 quad_perm:[0,0,0,0] row_mask:0xf bank_mask:0xf// 00000000CFBC: 0B2928FA FF0000F9
	v_mul_f32_dpp v149, v249, v149 quad_perm:[1,1,1,1] row_mask:0xf bank_mask:0xf// 00000000CFC4: 0B2B2AFA FF0055F9
	v_mul_f32_dpp v150, v249, v150 quad_perm:[2,2,2,2] row_mask:0xf bank_mask:0xf// 00000000CFCC: 0B2D2CFA FF00AAF9
	v_mul_f32_dpp v151, v249, v151 quad_perm:[3,3,3,3] row_mask:0xf bank_mask:0xf// 00000000CFD4: 0B2F2EFA FF00FFF9
	v_mul_f32_dpp v152, v250, v152 quad_perm:[0,0,0,0] row_mask:0xf bank_mask:0xf// 00000000CFDC: 0B3130FA FF0000FA
	v_mul_f32_dpp v153, v250, v153 quad_perm:[1,1,1,1] row_mask:0xf bank_mask:0xf// 00000000CFE4: 0B3332FA FF0055FA
	v_mul_f32_dpp v154, v250, v154 quad_perm:[2,2,2,2] row_mask:0xf bank_mask:0xf// 00000000CFEC: 0B3534FA FF00AAFA
	v_mul_f32_dpp v155, v250, v155 quad_perm:[3,3,3,3] row_mask:0xf bank_mask:0xf// 00000000CFF4: 0B3736FA FF00FFFA
	v_mul_f32_dpp v156, v251, v156 quad_perm:[0,0,0,0] row_mask:0xf bank_mask:0xf// 00000000CFFC: 0B3938FA FF0000FB
	v_mul_f32_dpp v157, v251, v157 quad_perm:[1,1,1,1] row_mask:0xf bank_mask:0xf// 00000000D004: 0B3B3AFA FF0055FB
	v_mul_f32_dpp v158, v251, v158 quad_perm:[2,2,2,2] row_mask:0xf bank_mask:0xf// 00000000D00C: 0B3D3CFA FF00AAFB
	v_mul_f32_dpp v159, v251, v159 quad_perm:[3,3,3,3] row_mask:0xf bank_mask:0xf// 00000000D014: 0B3F3EFA FF00FFFB
	v_mov_b32_e32 v62, v144                                    // 00000000D01C: 7E7C0390
	v_max3_f32 v62, v144, v145, v62                            // 00000000D020: D1D3003E 04FB2390
	v_max3_f32 v62, v146, v147, v62                            // 00000000D028: D1D3003E 04FB2792
	v_max3_f32 v62, v148, v149, v62                            // 00000000D030: D1D3003E 04FB2B94
	v_max3_f32 v62, v150, v151, v62                            // 00000000D038: D1D3003E 04FB2F96
	v_max3_f32 v62, v152, v153, v62                            // 00000000D040: D1D3003E 04FB3398
	v_max3_f32 v62, v154, v155, v62                            // 00000000D048: D1D3003E 04FB379A
	v_max3_f32 v62, v156, v157, v62                            // 00000000D050: D1D3003E 04FB3B9C
	v_max3_f32 v62, v158, v159, v62                            // 00000000D058: D1D3003E 04FB3F9E
	ds_write_b32 v11, v62 offset:16896                         // 00000000D060: D81A4200 00003E0B
	v_mul_f32_e32 v232, v64, v232                              // 00000000D068: 0BD1D140
	v_mul_f32_e32 v233, v64, v233                              // 00000000D06C: 0BD3D340
	v_mul_f32_e32 v234, v64, v234                              // 00000000D070: 0BD5D540
	v_mul_f32_e32 v235, v64, v235                              // 00000000D074: 0BD7D740
	v_mul_f32_e32 v236, v64, v236                              // 00000000D078: 0BD9D940
	v_mul_f32_e32 v237, v64, v237                              // 00000000D07C: 0BDBDB40
	v_mul_f32_e32 v238, v64, v238                              // 00000000D080: 0BDDDD40
	v_mul_f32_e32 v239, v64, v239                              // 00000000D084: 0BDFDF40
	s_waitcnt lgkmcnt(0)                                       // 00000000D088: BF8CC07F
	s_barrier                                                  // 00000000D08C: BF8A0000
	ds_read_b32 v80, v10 offset:16896                          // 00000000D090: D86C4200 5000000A
	ds_read_b32 v81, v10 offset:16960                          // 00000000D098: D86C4240 5100000A
	ds_read_b32 v82, v10 offset:17024                          // 00000000D0A0: D86C4280 5200000A
	ds_read_b32 v83, v10 offset:17088                          // 00000000D0A8: D86C42C0 5300000A
	ds_read_b32 v84, v10 offset:17152                          // 00000000D0B0: D86C4300 5400000A
	ds_read_b32 v85, v10 offset:17216                          // 00000000D0B8: D86C4340 5500000A
	ds_read_b32 v86, v10 offset:17280                          // 00000000D0C0: D86C4380 5600000A
	ds_read_b32 v87, v10 offset:17344                          // 00000000D0C8: D86C43C0 5700000A
	ds_read_b32 v88, v10 offset:17408                          // 00000000D0D0: D86C4400 5800000A
	ds_read_b32 v89, v10 offset:17472                          // 00000000D0D8: D86C4440 5900000A
	ds_read_b32 v90, v10 offset:17536                          // 00000000D0E0: D86C4480 5A00000A
	ds_read_b32 v91, v10 offset:17600                          // 00000000D0E8: D86C44C0 5B00000A
	ds_read_b32 v92, v10 offset:17664                          // 00000000D0F0: D86C4500 5C00000A
	ds_read_b32 v93, v10 offset:17728                          // 00000000D0F8: D86C4540 5D00000A
	ds_read_b32 v94, v10 offset:17792                          // 00000000D100: D86C4580 5E00000A
	ds_read_b32 v95, v10 offset:17856                          // 00000000D108: D86C45C0 5F00000A
	v_mul_f32_e32 v200, v59, v200                              // 00000000D110: 0B91913B
	v_mul_f32_e32 v201, v59, v201                              // 00000000D114: 0B93933B
	v_mul_f32_e32 v202, v59, v202                              // 00000000D118: 0B95953B
	v_mul_f32_e32 v203, v59, v203                              // 00000000D11C: 0B97973B
	v_mul_f32_e32 v204, v59, v204                              // 00000000D120: 0B99993B
	v_mul_f32_e32 v205, v59, v205                              // 00000000D124: 0B9B9B3B
	v_mul_f32_e32 v206, v59, v206                              // 00000000D128: 0B9D9D3B
	v_mul_f32_e32 v207, v59, v207                              // 00000000D12C: 0B9F9F3B
	s_waitcnt lgkmcnt(0)                                       // 00000000D130: BF8CC07F
	v_max3_f32 v62, v80, v81, v62                              // 00000000D134: D1D3003E 04FAA350
	v_max3_f32 v62, v82, v83, v62                              // 00000000D13C: D1D3003E 04FAA752
	v_max3_f32 v62, v84, v85, v62                              // 00000000D144: D1D3003E 04FAAB54
	v_max3_f32 v62, v86, v87, v62                              // 00000000D14C: D1D3003E 04FAAF56
	v_max3_f32 v62, v88, v89, v62                              // 00000000D154: D1D3003E 04FAB358
	v_max3_f32 v62, v90, v91, v62                              // 00000000D15C: D1D3003E 04FAB75A
	v_max3_f32 v62, v92, v93, v62                              // 00000000D164: D1D3003E 04FABB5C
	v_max3_f32 v62, v94, v95, v62                              // 00000000D16C: D1D3003E 04FABF5E
	v_mov_b32_e32 v41, 0xff800000                              // 00000000D174: 7E5202FF FF800000
	v_cmp_eq_u32_e64 s[40:41], v41, v15                        // 00000000D17C: D0CA0028 00021F29
	s_nop 1                                                    // 00000000D184: BF800001
	v_max_f32_e32 v18, v62, v15                                // 00000000D188: 16241F3E
	v_mul_f32_e32 v67, s64, v18                                // 00000000D18C: 0A862440
	v_fma_f32 v144, v144, s64, -v67                            // 00000000D190: D1CB0090 850C8190
	v_fma_f32 v145, v145, s64, -v67                            // 00000000D198: D1CB0091 850C8191
	v_fma_f32 v146, v146, s64, -v67                            // 00000000D1A0: D1CB0092 850C8192
	v_fma_f32 v147, v147, s64, -v67                            // 00000000D1A8: D1CB0093 850C8193
	v_fma_f32 v148, v148, s64, -v67                            // 00000000D1B0: D1CB0094 850C8194
	v_fma_f32 v149, v149, s64, -v67                            // 00000000D1B8: D1CB0095 850C8195
	v_fma_f32 v150, v150, s64, -v67                            // 00000000D1C0: D1CB0096 850C8196
	v_fma_f32 v151, v151, s64, -v67                            // 00000000D1C8: D1CB0097 850C8197
	v_fma_f32 v152, v152, s64, -v67                            // 00000000D1D0: D1CB0098 850C8198
	v_fma_f32 v153, v153, s64, -v67                            // 00000000D1D8: D1CB0099 850C8199
	v_fma_f32 v154, v154, s64, -v67                            // 00000000D1E0: D1CB009A 850C819A
	v_fma_f32 v155, v155, s64, -v67                            // 00000000D1E8: D1CB009B 850C819B
	v_fma_f32 v156, v156, s64, -v67                            // 00000000D1F0: D1CB009C 850C819C
	v_fma_f32 v157, v157, s64, -v67                            // 00000000D1F8: D1CB009D 850C819D
	v_fma_f32 v158, v158, s64, -v67                            // 00000000D200: D1CB009E 850C819E
	v_fma_f32 v159, v159, s64, -v67                            // 00000000D208: D1CB009F 850C819F
	v_exp_f32_e32 v144, v144                                   // 00000000D210: 7F204190
	v_exp_f32_e32 v145, v145                                   // 00000000D214: 7F224191
	v_exp_f32_e32 v146, v146                                   // 00000000D218: 7F244192
	v_exp_f32_e32 v147, v147                                   // 00000000D21C: 7F264193
	v_exp_f32_e32 v148, v148                                   // 00000000D220: 7F284194
	v_exp_f32_e32 v149, v149                                   // 00000000D224: 7F2A4195
	v_exp_f32_e32 v150, v150                                   // 00000000D228: 7F2C4196
	v_exp_f32_e32 v151, v151                                   // 00000000D22C: 7F2E4197
	v_exp_f32_e32 v152, v152                                   // 00000000D230: 7F304198
	v_exp_f32_e32 v153, v153                                   // 00000000D234: 7F324199
	v_exp_f32_e32 v154, v154                                   // 00000000D238: 7F34419A
	v_exp_f32_e32 v155, v155                                   // 00000000D23C: 7F36419B
	v_exp_f32_e32 v156, v156                                   // 00000000D240: 7F38419C
	v_exp_f32_e32 v157, v157                                   // 00000000D244: 7F3A419D
	v_exp_f32_e32 v158, v158                                   // 00000000D248: 7F3C419E
	v_exp_f32_e32 v159, v159                                   // 00000000D24C: 7F3E419F
	v_mul_f32_dpp v240, v252, v144 quad_perm:[0,0,0,0] row_mask:0xf bank_mask:0xf// 00000000D250: 0BE120FA FF0000FC
	v_mul_f32_dpp v241, v252, v145 quad_perm:[1,1,1,1] row_mask:0xf bank_mask:0xf// 00000000D258: 0BE322FA FF0055FC
	v_mul_f32_dpp v242, v252, v146 quad_perm:[2,2,2,2] row_mask:0xf bank_mask:0xf// 00000000D260: 0BE524FA FF00AAFC
	v_mul_f32_dpp v243, v252, v147 quad_perm:[3,3,3,3] row_mask:0xf bank_mask:0xf// 00000000D268: 0BE726FA FF00FFFC
	v_mul_f32_dpp v244, v253, v148 quad_perm:[0,0,0,0] row_mask:0xf bank_mask:0xf// 00000000D270: 0BE928FA FF0000FD
	v_mul_f32_dpp v245, v253, v149 quad_perm:[1,1,1,1] row_mask:0xf bank_mask:0xf// 00000000D278: 0BEB2AFA FF0055FD
	v_mul_f32_dpp v246, v253, v150 quad_perm:[2,2,2,2] row_mask:0xf bank_mask:0xf// 00000000D280: 0BED2CFA FF00AAFD
	v_mul_f32_dpp v247, v253, v151 quad_perm:[3,3,3,3] row_mask:0xf bank_mask:0xf// 00000000D288: 0BEF2EFA FF00FFFD
	v_mul_f32_dpp v248, v254, v152 quad_perm:[0,0,0,0] row_mask:0xf bank_mask:0xf// 00000000D290: 0BF130FA FF0000FE
	v_mul_f32_dpp v249, v254, v153 quad_perm:[1,1,1,1] row_mask:0xf bank_mask:0xf// 00000000D298: 0BF332FA FF0055FE
	v_mul_f32_dpp v250, v254, v154 quad_perm:[2,2,2,2] row_mask:0xf bank_mask:0xf// 00000000D2A0: 0BF534FA FF00AAFE
	v_mul_f32_dpp v251, v254, v155 quad_perm:[3,3,3,3] row_mask:0xf bank_mask:0xf// 00000000D2A8: 0BF736FA FF00FFFE
	v_mul_f32_dpp v252, v255, v156 quad_perm:[0,0,0,0] row_mask:0xf bank_mask:0xf// 00000000D2B0: 0BF938FA FF0000FF
	v_mul_f32_dpp v253, v255, v157 quad_perm:[1,1,1,1] row_mask:0xf bank_mask:0xf// 00000000D2B8: 0BFB3AFA FF0055FF
	v_mul_f32_dpp v254, v255, v158 quad_perm:[2,2,2,2] row_mask:0xf bank_mask:0xf// 00000000D2C0: 0BFD3CFA FF00AAFF
	v_mul_f32_dpp v255, v255, v159 quad_perm:[3,3,3,3] row_mask:0xf bank_mask:0xf// 00000000D2C8: 0BFF3EFA FF00FFFF
	v_mov_b32_e32 v62, 0x358637bd                              // 00000000D2D0: 7E7C02FF 358637BD
	v_max3_f32 v62, |v240|, |v241|, v62                        // 00000000D2D8: D1D3033E 04FBE3F0
	v_max3_f32 v62, |v242|, |v243|, v62                        // 00000000D2E0: D1D3033E 04FBE7F2
	v_max3_f32 v62, |v244|, |v245|, v62                        // 00000000D2E8: D1D3033E 04FBEBF4
	v_max3_f32 v62, |v246|, |v247|, v62                        // 00000000D2F0: D1D3033E 04FBEFF6
	v_max3_f32 v62, |v248|, |v249|, v62                        // 00000000D2F8: D1D3033E 04FBF3F8
	v_max3_f32 v62, |v250|, |v251|, v62                        // 00000000D300: D1D3033E 04FBF7FA
	v_max3_f32 v62, |v252|, |v253|, v62                        // 00000000D308: D1D3033E 04FBFBFC
	v_max3_f32 v62, |v254|, |v255|, v62                        // 00000000D310: D1D3033E 04FBFFFE
	ds_write_b32 v11, v62 offset:20992                         // 00000000D318: D81A5200 00003E0B
	v_sub_f32_e32 v64, v15, v18                                // 00000000D320: 0480250F
	v_cndmask_b32_e64 v64, v64, 0, s[40:41]                    // 00000000D324: D1000040 00A10140
	v_mov_b32_e32 v15, v18                                     // 00000000D32C: 7E1E0312
	v_mul_f32_e32 v64, s64, v64                                // 00000000D330: 0A808040
	v_exp_f32_e32 v64, v64                                     // 00000000D334: 7E804140
	s_waitcnt lgkmcnt(0)                                       // 00000000D338: BF8CC07F
	s_barrier                                                  // 00000000D33C: BF8A0000
	ds_read_b32 v80, v10 offset:20992                          // 00000000D340: D86C5200 5000000A
	ds_read_b32 v81, v10 offset:21056                          // 00000000D348: D86C5240 5100000A
	ds_read_b32 v82, v10 offset:21120                          // 00000000D350: D86C5280 5200000A
	ds_read_b32 v83, v10 offset:21184                          // 00000000D358: D86C52C0 5300000A
	ds_read_b32 v84, v10 offset:21248                          // 00000000D360: D86C5300 5400000A
	ds_read_b32 v85, v10 offset:21312                          // 00000000D368: D86C5340 5500000A
	ds_read_b32 v86, v10 offset:21376                          // 00000000D370: D86C5380 5600000A
	ds_read_b32 v87, v10 offset:21440                          // 00000000D378: D86C53C0 5700000A
	ds_read_b32 v88, v10 offset:21504                          // 00000000D380: D86C5400 5800000A
	ds_read_b32 v89, v10 offset:21568                          // 00000000D388: D86C5440 5900000A
	ds_read_b32 v90, v10 offset:21632                          // 00000000D390: D86C5480 5A00000A
	ds_read_b32 v91, v10 offset:21696                          // 00000000D398: D86C54C0 5B00000A
	ds_read_b32 v92, v10 offset:21760                          // 00000000D3A0: D86C5500 5C00000A
	ds_read_b32 v93, v10 offset:21824                          // 00000000D3A8: D86C5540 5D00000A
	ds_read_b32 v94, v10 offset:21888                          // 00000000D3B0: D86C5580 5E00000A
	ds_read_b32 v95, v10 offset:21952                          // 00000000D3B8: D86C55C0 5F00000A
	v_mul_f32_e32 v48, v64, v48                                // 00000000D3C0: 0A606140
	v_mov_b32_e32 v18, v144                                    // 00000000D3C4: 7E240390
	v_add_f32_e32 v18, v145, v18                               // 00000000D3C8: 02242591
	v_add_f32_e32 v18, v146, v18                               // 00000000D3CC: 02242592
	v_add_f32_e32 v18, v147, v18                               // 00000000D3D0: 02242593
	v_add_f32_e32 v18, v148, v18                               // 00000000D3D4: 02242594
	v_add_f32_e32 v18, v149, v18                               // 00000000D3D8: 02242595
	v_add_f32_e32 v18, v150, v18                               // 00000000D3DC: 02242596
	v_add_f32_e32 v18, v151, v18                               // 00000000D3E0: 02242597
	v_add_f32_e32 v18, v152, v18                               // 00000000D3E4: 02242598
	v_add_f32_e32 v18, v153, v18                               // 00000000D3E8: 02242599
	v_add_f32_e32 v18, v154, v18                               // 00000000D3EC: 0224259A
	v_add_f32_e32 v18, v155, v18                               // 00000000D3F0: 0224259B
	v_add_f32_e32 v18, v156, v18                               // 00000000D3F4: 0224259C
	v_add_f32_e32 v18, v157, v18                               // 00000000D3F8: 0224259D
	v_add_f32_e32 v18, v158, v18                               // 00000000D3FC: 0224259E
	v_add_f32_e32 v18, v159, v18                               // 00000000D400: 0224259F
	v_add_f32_e32 v48, v18, v48                                // 00000000D404: 02606112
	s_waitcnt lgkmcnt(0)                                       // 00000000D408: BF8CC07F
	v_max3_f32 v62, |v80|, |v81|, v62                          // 00000000D40C: D1D3033E 04FAA350
	v_max3_f32 v62, |v82|, |v83|, v62                          // 00000000D414: D1D3033E 04FAA752
	v_max3_f32 v62, |v84|, |v85|, v62                          // 00000000D41C: D1D3033E 04FAAB54
	v_max3_f32 v62, |v86|, |v87|, v62                          // 00000000D424: D1D3033E 04FAAF56
	v_max3_f32 v62, |v88|, |v89|, v62                          // 00000000D42C: D1D3033E 04FAB358
	v_max3_f32 v62, |v90|, |v91|, v62                          // 00000000D434: D1D3033E 04FAB75A
	v_max3_f32 v62, |v92|, |v93|, v62                          // 00000000D43C: D1D3033E 04FABB5C
	v_max3_f32 v62, |v94|, |v95|, v62                          // 00000000D444: D1D3033E 04FABF5E
	s_nop 2                                                    // 00000000D44C: BF800002
	v_rcp_f32_e32 v62, v62                                     // 00000000D450: 7E7C453E
	s_nop 1                                                    // 00000000D454: BF800001
	v_mul_f32_e32 v62, 0x43700000, v62                         // 00000000D458: 0A7C7CFF 43700000
	v_mul_f32_e32 v144, v62, v240                              // 00000000D460: 0B21E13E
	v_mul_f32_e32 v145, v62, v241                              // 00000000D464: 0B23E33E
	v_mul_f32_e32 v146, v62, v242                              // 00000000D468: 0B25E53E
	v_mul_f32_e32 v147, v62, v243                              // 00000000D46C: 0B27E73E
	v_mul_f32_e32 v148, v62, v244                              // 00000000D470: 0B29E93E
	v_mul_f32_e32 v149, v62, v245                              // 00000000D474: 0B2BEB3E
	v_mul_f32_e32 v150, v62, v246                              // 00000000D478: 0B2DED3E
	v_mul_f32_e32 v151, v62, v247                              // 00000000D47C: 0B2FEF3E
	v_mul_f32_e32 v152, v62, v248                              // 00000000D480: 0B31F13E
	v_mul_f32_e32 v153, v62, v249                              // 00000000D484: 0B33F33E
	v_mul_f32_e32 v154, v62, v250                              // 00000000D488: 0B35F53E
	v_mul_f32_e32 v155, v62, v251                              // 00000000D48C: 0B37F73E
	v_mul_f32_e32 v156, v62, v252                              // 00000000D490: 0B39F93E
	v_mul_f32_e32 v157, v62, v253                              // 00000000D494: 0B3BFB3E
	v_mul_f32_e32 v158, v62, v254                              // 00000000D498: 0B3DFD3E
	v_mul_f32_e32 v159, v62, v255                              // 00000000D49C: 0B3FFF3E
	v_cvt_pk_fp8_f32 v144, v144, v145                          // 00000000D4A0: D2A20090 00032390
	v_cvt_pk_fp8_f32 v144, v146, v147 op_sel:[0,0,1]           // 00000000D4A8: D2A24090 00032792
	v_cvt_pk_fp8_f32 v145, v148, v149                          // 00000000D4B0: D2A20091 00032B94
	v_cvt_pk_fp8_f32 v145, v150, v151 op_sel:[0,0,1]           // 00000000D4B8: D2A24091 00032F96
	v_cvt_pk_fp8_f32 v146, v152, v153                          // 00000000D4C0: D2A20092 00033398
	v_cvt_pk_fp8_f32 v146, v154, v155 op_sel:[0,0,1]           // 00000000D4C8: D2A24092 0003379A
	v_cvt_pk_fp8_f32 v147, v156, v157                          // 00000000D4D0: D2A20093 00033B9C
	v_cvt_pk_fp8_f32 v147, v158, v159 op_sel:[0,0,1]           // 00000000D4D8: D2A24093 00033F9E
	ds_write_b32 v13, v144 offset:29184                        // 00000000D4E0: D81A7200 0000900D
	ds_write_b32 v13, v145 offset:30208                        // 00000000D4E8: D81A7600 0000910D
	ds_write_b32 v13, v146 offset:31232                        // 00000000D4F0: D81A7A00 0000920D
	ds_write_b32 v13, v147 offset:32256                        // 00000000D4F8: D81A7E00 0000930D
	v_add_f32_e32 v232, v232, v200                             // 00000000D500: 03D191E8
	v_add_f32_e32 v233, v233, v201                             // 00000000D504: 03D393E9
	v_add_f32_e32 v234, v234, v202                             // 00000000D508: 03D595EA
	v_add_f32_e32 v235, v235, v203                             // 00000000D50C: 03D797EB
	v_add_f32_e32 v236, v236, v204                             // 00000000D510: 03D999EC
	v_add_f32_e32 v237, v237, v205                             // 00000000D514: 03DB9BED
	v_add_f32_e32 v238, v238, v206                             // 00000000D518: 03DD9DEE
	v_add_f32_e32 v239, v239, v207                             // 00000000D51C: 03DF9FEF
	v_rcp_f32_e32 v59, v62                                     // 00000000D520: 7E76453E
	s_waitcnt lgkmcnt(0)                                       // 00000000D524: BF8CC07F
	s_barrier                                                  // 00000000D528: BF8A0000
	ds_read_b64 v[144:145], v12 offset:29184                   // 00000000D52C: D8EC7200 9000000C
	ds_read_b64 v[146:147], v12 offset:29312                   // 00000000D534: D8EC7280 9200000C
	ds_read_b64 v[148:149], v12 offset:30208                   // 00000000D53C: D8EC7600 9400000C
	ds_read_b64 v[150:151], v12 offset:30336                   // 00000000D544: D8EC7680 9600000C
	ds_read_b64 v[152:153], v12 offset:31232                   // 00000000D54C: D8EC7A00 9800000C
	ds_read_b64 v[154:155], v12 offset:31360                   // 00000000D554: D8EC7A80 9A00000C
	ds_read_b64 v[156:157], v12 offset:32256                   // 00000000D55C: D8EC7E00 9C00000C
	ds_read_b64 v[158:159], v12 offset:32384                   // 00000000D564: D8EC7E80 9E00000C
	s_waitcnt vmcnt(15)                                        // 00000000D56C: BF8C0F7F
	v_mfma_f32_16x16x32_fp8_fp8 v[192:195], a[64:65], v[128:129], 0// 00000000D570: D3F300C0 0A030140
	buffer_load_dwordx4 a[112:115], v37, s[20:23], 0 offen offset:1024// 00000000D578: E05C1400 80857025
	v_mfma_f32_16x16x32_fp8_fp8 v[192:195], a[66:67], v[130:131], v[192:195]// 00000000D580: D3F300C0 0F030542
	v_mfma_f32_16x16x32_fp8_fp8 v[192:195], a[68:69], v[132:133], v[192:195]// 00000000D588: D3F300C0 0F030944
	v_mfma_f32_16x16x32_fp8_fp8 v[192:195], a[70:71], v[134:135], v[192:195]// 00000000D590: D3F300C0 0F030D46
	v_mfma_f32_16x16x32_fp8_fp8 v[192:195], a[72:73], v[136:137], v[192:195]// 00000000D598: D3F300C0 0F031148
	buffer_load_dwordx4 a[116:119], v38, s[20:23], 0 offen offset:1024// 00000000D5A0: E05C1400 80857426
	v_mfma_f32_16x16x32_fp8_fp8 v[192:195], a[74:75], v[138:139], v[192:195]// 00000000D5A8: D3F300C0 0F03154A
	v_mfma_f32_16x16x32_fp8_fp8 v[192:195], a[76:77], v[140:141], v[192:195]// 00000000D5B0: D3F300C0 0F03194C
	v_mfma_f32_16x16x32_fp8_fp8 v[192:195], a[78:79], v[142:143], v[192:195]// 00000000D5B8: D3F300C0 0F031D4E
	v_mfma_f32_16x16x32_fp8_fp8 v[196:199], a[80:81], v[128:129], 0// 00000000D5C0: D3F300C4 0A030150
	buffer_load_dwordx4 a[120:123], v39, s[20:23], 0 offen offset:1024// 00000000D5C8: E05C1400 80857827
	v_mfma_f32_16x16x32_fp8_fp8 v[196:199], a[82:83], v[130:131], v[196:199]// 00000000D5D0: D3F300C4 0F130552
	v_mfma_f32_16x16x32_fp8_fp8 v[196:199], a[84:85], v[132:133], v[196:199]// 00000000D5D8: D3F300C4 0F130954
	v_mfma_f32_16x16x32_fp8_fp8 v[196:199], a[86:87], v[134:135], v[196:199]// 00000000D5E0: D3F300C4 0F130D56
	v_mfma_f32_16x16x32_fp8_fp8 v[196:199], a[88:89], v[136:137], v[196:199]// 00000000D5E8: D3F300C4 0F131158
	buffer_load_dwordx4 a[124:127], v40, s[20:23], 0 offen offset:1024// 00000000D5F0: E05C1400 80857C28
	v_mfma_f32_16x16x32_fp8_fp8 v[196:199], a[90:91], v[138:139], v[196:199]// 00000000D5F8: D3F300C4 0F13155A
	v_mfma_f32_16x16x32_fp8_fp8 v[196:199], a[92:93], v[140:141], v[196:199]// 00000000D600: D3F300C4 0F13195C
	s_lshr_b32 s57, s70, 4                                     // 00000000D608: 8F398446
	s_add_u32 s57, 48, s57                                     // 00000000D60C: 803939B0
	v_mfma_f32_16x16x32_fp8_fp8 v[196:199], a[94:95], v[142:143], v[196:199]// 00000000D610: D3F300C4 0F131D5E
	s_cmp_ge_u32 s57, s73                                      // 00000000D618: BF094939
	s_cselect_b32 s56, 0, s56                                  // 00000000D61C: 85383880
	v_mfma_f32_16x16x32_fp8_fp8 v[200:203], a[64:65], v[144:145], 0// 00000000D620: D3F300C8 0A032140
	v_mfma_f32_16x16x32_fp8_fp8 v[200:203], a[66:67], v[146:147], v[200:203]// 00000000D628: D3F300C8 0F232542
	v_mfma_f32_16x16x32_fp8_fp8 v[200:203], a[68:69], v[148:149], v[200:203]// 00000000D630: D3F300C8 0F232944
	v_mfma_f32_16x16x32_fp8_fp8 v[200:203], a[70:71], v[150:151], v[200:203]// 00000000D638: D3F300C8 0F232D46
	v_mfma_f32_16x16x32_fp8_fp8 v[200:203], a[72:73], v[152:153], v[200:203]// 00000000D640: D3F300C8 0F233148
	v_mfma_f32_16x16x32_fp8_fp8 v[200:203], a[74:75], v[154:155], v[200:203]// 00000000D648: D3F300C8 0F23354A
	v_mfma_f32_16x16x32_fp8_fp8 v[200:203], a[76:77], v[156:157], v[200:203]// 00000000D650: D3F300C8 0F23394C
	v_mfma_f32_16x16x32_fp8_fp8 v[200:203], a[78:79], v[158:159], v[200:203]// 00000000D658: D3F300C8 0F233D4E
	v_mfma_f32_16x16x32_fp8_fp8 v[204:207], a[80:81], v[144:145], 0// 00000000D660: D3F300CC 0A032150
	v_mfma_f32_16x16x32_fp8_fp8 v[204:207], a[82:83], v[146:147], v[204:207]// 00000000D668: D3F300CC 0F332552
	v_mfma_f32_16x16x32_fp8_fp8 v[204:207], a[84:85], v[148:149], v[204:207]// 00000000D670: D3F300CC 0F332954
	v_mfma_f32_16x16x32_fp8_fp8 v[204:207], a[86:87], v[150:151], v[204:207]// 00000000D678: D3F300CC 0F332D56
	v_mfma_f32_16x16x32_fp8_fp8 v[204:207], a[88:89], v[152:153], v[204:207]// 00000000D680: D3F300CC 0F333158
	v_mfma_f32_16x16x32_fp8_fp8 v[204:207], a[90:91], v[154:155], v[204:207]// 00000000D688: D3F300CC 0F33355A
	v_mfma_f32_16x16x32_fp8_fp8 v[204:207], a[92:93], v[156:157], v[204:207]// 00000000D690: D3F300CC 0F33395C
	v_mfma_f32_16x16x32_fp8_fp8 v[204:207], a[94:95], v[158:159], v[204:207]// 00000000D698: D3F300CC 0F333D5E
	v_add_u32_e32 v1, s56, v1                                  // 00000000D6A0: 68020238
	s_addk_i32 s70, 0x100                                      // 00000000D6A4: B7460100
	s_cmp_lt_i32 s70, s71                                      // 00000000D6A8: BF044746
	s_cbranch_scc0 label_28EB                                  // 00000000D6AC: BF84FBBF
	s_waitcnt vmcnt(8) lgkmcnt(0)                              // 00000000D6B0: BF8C0078
	v_mul_u32_u24_dpp v41, v19, v68 row_newbcast:0 row_mask:0xf bank_mask:0xf// 00000000D6B4: 105288FA FF015013
	v_mul_u32_u24_dpp v42, v19, v68 row_newbcast:4 row_mask:0xf bank_mask:0xf// 00000000D6BC: 105488FA FF015413
	v_mul_u32_u24_dpp v43, v19, v68 row_newbcast:8 row_mask:0xf bank_mask:0xf// 00000000D6C4: 105688FA FF015813
	v_mul_u32_u24_dpp v44, v19, v68 row_newbcast:12 row_mask:0xf bank_mask:0xf// 00000000D6CC: 105888FA FF015C13
	v_add_u32_e32 v25, v41, v6                                 // 00000000D6D4: 68320D29
	v_add_u32_e32 v26, v42, v6                                 // 00000000D6D8: 68340D2A
	v_add_u32_e32 v27, v43, v6                                 // 00000000D6DC: 68360D2B
	v_add_u32_e32 v28, v44, v6                                 // 00000000D6E0: 68380D2C
	v_mul_u32_u24_dpp v41, v19, v78 quad_perm:[0,0,0,0] row_mask:0xf bank_mask:0xf// 00000000D6E4: 10529CFA FF000013
	v_add_u32_e32 v2, v41, v74                                 // 00000000D6EC: 68049529
	v_mul_u32_u24_dpp v41, v19, v78 quad_perm:[0,0,0,0] row_mask:0xf bank_mask:0xf// 00000000D6F0: 10529CFA FF000013
	v_add_u32_e32 v70, v41, v75                                // 00000000D6F8: 688C9729
	v_mfma_f32_16x16x32_fp8_fp8 v[128:131], a[32:33], v[96:97], 0// 00000000D6FC: D3F30080 0A02C120
	buffer_load_dwordx4 a[0:3], v25, s[16:19], 0 offen         // 00000000D704: E05C1000 80840019
	v_mfma_f32_16x16x32_fp8_fp8 v[128:131], a[34:35], v[98:99], v[128:131]// 00000000D70C: D3F30080 0E02C522
	v_mfma_f32_16x16x32_fp8_fp8 v[128:131], a[36:37], v[100:101], v[128:131]// 00000000D714: D3F30080 0E02C924
	buffer_load_dword v20, v1, s[24:27], 0 offen               // 00000000D71C: E0501000 80061401
	v_mfma_f32_16x16x32_fp8_fp8 v[128:131], a[38:39], v[102:103], v[128:131]// 00000000D724: D3F30080 0E02CD26
	v_mfma_f32_16x16x32_fp8_fp8 v[132:135], a[40:41], v[96:97], 0// 00000000D72C: D3F30084 0A02C128
	buffer_load_dwordx4 a[4:7], v25, s[16:19], 0 offen offset:1024// 00000000D734: E05C1400 80840419
	v_mfma_f32_16x16x32_fp8_fp8 v[132:135], a[42:43], v[98:99], v[132:135]// 00000000D73C: D3F30084 0E12C52A
	v_mfma_f32_16x16x32_fp8_fp8 v[132:135], a[44:45], v[100:101], v[132:135]// 00000000D744: D3F30084 0E12C92C
	v_mfma_f32_16x16x32_fp8_fp8 v[132:135], a[46:47], v[102:103], v[132:135]// 00000000D74C: D3F30084 0E12CD2E
	v_mfma_f32_16x16x32_fp8_fp8 v[136:139], a[48:49], v[96:97], 0// 00000000D754: D3F30088 0A02C130
	buffer_load_dwordx4 a[8:11], v26, s[16:19], 0 offen        // 00000000D75C: E05C1000 8084081A
	v_mfma_f32_16x16x32_fp8_fp8 v[136:139], a[50:51], v[98:99], v[136:139]// 00000000D764: D3F30088 0E22C532
	v_mfma_f32_16x16x32_fp8_fp8 v[136:139], a[52:53], v[100:101], v[136:139]// 00000000D76C: D3F30088 0E22C934
	v_mfma_f32_16x16x32_fp8_fp8 v[136:139], a[54:55], v[102:103], v[136:139]// 00000000D774: D3F30088 0E22CD36
	v_mfma_f32_16x16x32_fp8_fp8 v[140:143], a[56:57], v[96:97], 0// 00000000D77C: D3F3008C 0A02C138
	buffer_load_dwordx4 a[12:15], v26, s[16:19], 0 offen offset:1024// 00000000D784: E05C1400 80840C1A
	v_mfma_f32_16x16x32_fp8_fp8 v[140:143], a[58:59], v[98:99], v[140:143]// 00000000D78C: D3F3008C 0E32C53A
	v_mfma_f32_16x16x32_fp8_fp8 v[140:143], a[60:61], v[100:101], v[140:143]// 00000000D794: D3F3008C 0E32C93C
	v_mfma_f32_16x16x32_fp8_fp8 v[140:143], a[62:63], v[102:103], v[140:143]// 00000000D79C: D3F3008C 0E32CD3E
	v_mfma_f32_16x16x32_fp8_fp8 v[144:147], a[32:33], v[104:105], 0// 00000000D7A4: D3F30090 0A02D120
	v_mfma_f32_16x16x32_fp8_fp8 v[144:147], a[34:35], v[106:107], v[144:147]// 00000000D7AC: D3F30090 0E42D522
	v_mfma_f32_16x16x32_fp8_fp8 v[144:147], a[36:37], v[108:109], v[144:147]// 00000000D7B4: D3F30090 0E42D924
	v_mfma_f32_16x16x32_fp8_fp8 v[144:147], a[38:39], v[110:111], v[144:147]// 00000000D7BC: D3F30090 0E42DD26
	v_mfma_f32_16x16x32_fp8_fp8 v[148:151], a[40:41], v[104:105], 0// 00000000D7C4: D3F30094 0A02D128
	v_mfma_f32_16x16x32_fp8_fp8 v[148:151], a[42:43], v[106:107], v[148:151]// 00000000D7CC: D3F30094 0E52D52A
	v_mfma_f32_16x16x32_fp8_fp8 v[148:151], a[44:45], v[108:109], v[148:151]// 00000000D7D4: D3F30094 0E52D92C
	v_mfma_f32_16x16x32_fp8_fp8 v[148:151], a[46:47], v[110:111], v[148:151]// 00000000D7DC: D3F30094 0E52DD2E
	v_mfma_f32_16x16x32_fp8_fp8 v[152:155], a[48:49], v[104:105], 0// 00000000D7E4: D3F30098 0A02D130
	v_mfma_f32_16x16x32_fp8_fp8 v[152:155], a[50:51], v[106:107], v[152:155]// 00000000D7EC: D3F30098 0E62D532
	v_mfma_f32_16x16x32_fp8_fp8 v[152:155], a[52:53], v[108:109], v[152:155]// 00000000D7F4: D3F30098 0E62D934
	v_mfma_f32_16x16x32_fp8_fp8 v[152:155], a[54:55], v[110:111], v[152:155]// 00000000D7FC: D3F30098 0E62DD36
	v_mfma_f32_16x16x32_fp8_fp8 v[156:159], a[56:57], v[104:105], 0// 00000000D804: D3F3009C 0A02D138
	v_mfma_f32_16x16x32_fp8_fp8 v[156:159], a[58:59], v[106:107], v[156:159]// 00000000D80C: D3F3009C 0E72D53A
	v_mfma_f32_16x16x32_fp8_fp8 v[156:159], a[60:61], v[108:109], v[156:159]// 00000000D814: D3F3009C 0E72D93C
	v_mfma_f32_16x16x32_fp8_fp8 v[156:159], a[62:63], v[110:111], v[156:159]// 00000000D81C: D3F3009C 0E72DD3E
	buffer_load_dword v52, v2, s[32:35], 0 offen               // 00000000D824: E0501000 80083402
	v_mov_b32_dpp v41, v53 row_shr:4 row_mask:0xf bank_mask:0xf// 00000000D82C: 7E5202FA FF011435
	v_mov_b32_dpp v42, v53 row_shl:4 row_mask:0xf bank_mask:0xf// 00000000D834: 7E5402FA FF010435
	v_cndmask_b32_e64 v248, v53, v41, s[44:45]                 // 00000000D83C: D10000F8 00B25335
	v_cndmask_b32_e64 v249, v42, v53, s[44:45]                 // 00000000D844: D10000F9 00B26B2A
	v_mov_b32_dpp v41, v248 row_shr:8 row_mask:0xf bank_mask:0xf// 00000000D84C: 7E5202FA FF0118F8
	v_mov_b32_dpp v42, v248 row_shl:8 row_mask:0xf bank_mask:0xf// 00000000D854: 7E5402FA FF0108F8
	v_mov_b32_dpp v43, v249 row_shr:8 row_mask:0xf bank_mask:0xf// 00000000D85C: 7E5602FA FF0118F9
	v_mov_b32_dpp v44, v249 row_shl:8 row_mask:0xf bank_mask:0xf// 00000000D864: 7E5802FA FF0108F9
	v_mov_b32_e32 v45, v248                                    // 00000000D86C: 7E5A03F8
	v_mov_b32_e32 v46, v249                                    // 00000000D870: 7E5C03F9
	v_cndmask_b32_e64 v248, v45, v41, s[42:43]                 // 00000000D874: D10000F8 00AA532D
	v_cndmask_b32_e64 v250, v45, v42, s[78:79]                 // 00000000D87C: D10000FA 013A552D
	v_cndmask_b32_e64 v249, v46, v43, s[42:43]                 // 00000000D884: D10000F9 00AA572E
	v_cndmask_b32_e64 v251, v46, v44, s[78:79]                 // 00000000D88C: D10000FB 013A592E
	v_mov_b32_dpp v41, v73 row_shr:4 row_mask:0xf bank_mask:0xf// 00000000D894: 7E5202FA FF011449
	v_mov_b32_dpp v42, v73 row_shl:4 row_mask:0xf bank_mask:0xf// 00000000D89C: 7E5402FA FF010449
	v_cndmask_b32_e64 v252, v73, v41, s[44:45]                 // 00000000D8A4: D10000FC 00B25349
	v_cndmask_b32_e64 v253, v42, v73, s[44:45]                 // 00000000D8AC: D10000FD 00B2932A
	v_mov_b32_dpp v41, v252 row_shr:8 row_mask:0xf bank_mask:0xf// 00000000D8B4: 7E5202FA FF0118FC
	v_mov_b32_dpp v42, v252 row_shl:8 row_mask:0xf bank_mask:0xf// 00000000D8BC: 7E5402FA FF0108FC
	v_mov_b32_dpp v43, v253 row_shr:8 row_mask:0xf bank_mask:0xf// 00000000D8C4: 7E5602FA FF0118FD
	v_mov_b32_dpp v44, v253 row_shl:8 row_mask:0xf bank_mask:0xf// 00000000D8CC: 7E5802FA FF0108FD
	v_mov_b32_e32 v45, v252                                    // 00000000D8D4: 7E5A03FC
	v_mov_b32_e32 v46, v253                                    // 00000000D8D8: 7E5C03FD
	v_cndmask_b32_e64 v252, v45, v41, s[42:43]                 // 00000000D8DC: D10000FC 00AA532D
	v_cndmask_b32_e64 v254, v45, v42, s[78:79]                 // 00000000D8E4: D10000FE 013A552D
	v_cndmask_b32_e64 v253, v46, v43, s[42:43]                 // 00000000D8EC: D10000FD 00AA572E
	v_cndmask_b32_e64 v255, v46, v44, s[78:79]                 // 00000000D8F4: D10000FF 013A592E
	buffer_load_dword v72, v70, s[36:39], 0 offen              // 00000000D8FC: E0501000 80094846
	v_mul_f32_e32 v128, v54, v128                              // 00000000D904: 0B010136
	v_mul_f32_e32 v129, v54, v129                              // 00000000D908: 0B030336
	v_mul_f32_e32 v130, v54, v130                              // 00000000D90C: 0B050536
	v_mul_f32_e32 v131, v54, v131                              // 00000000D910: 0B070736
	v_mul_f32_e32 v132, v54, v132                              // 00000000D914: 0B090936
	v_mul_f32_e32 v133, v54, v133                              // 00000000D918: 0B0B0B36
	v_mul_f32_e32 v134, v54, v134                              // 00000000D91C: 0B0D0D36
	v_mul_f32_e32 v135, v54, v135                              // 00000000D920: 0B0F0F36
	v_mul_f32_e32 v136, v54, v136                              // 00000000D924: 0B111136
	v_mul_f32_e32 v137, v54, v137                              // 00000000D928: 0B131336
	v_mul_f32_e32 v138, v54, v138                              // 00000000D92C: 0B151536
	v_mul_f32_e32 v139, v54, v139                              // 00000000D930: 0B171736
	v_mul_f32_e32 v140, v54, v140                              // 00000000D934: 0B191936
	v_mul_f32_e32 v141, v54, v141                              // 00000000D938: 0B1B1B36
	v_mul_f32_e32 v142, v54, v142                              // 00000000D93C: 0B1D1D36
	v_mul_f32_e32 v143, v54, v143                              // 00000000D940: 0B1F1F36
	buffer_load_dwordx4 a[16:19], v27, s[16:19], 0 offen       // 00000000D944: E05C1000 8084101B
	v_mul_f32_dpp v128, v248, v128 quad_perm:[0,0,0,0] row_mask:0xf bank_mask:0xf// 00000000D94C: 0B0100FA FF0000F8
	v_mul_f32_dpp v129, v248, v129 quad_perm:[1,1,1,1] row_mask:0xf bank_mask:0xf// 00000000D954: 0B0302FA FF0055F8
	v_mul_f32_dpp v130, v248, v130 quad_perm:[2,2,2,2] row_mask:0xf bank_mask:0xf// 00000000D95C: 0B0504FA FF00AAF8
	v_mul_f32_dpp v131, v248, v131 quad_perm:[3,3,3,3] row_mask:0xf bank_mask:0xf// 00000000D964: 0B0706FA FF00FFF8
	v_mul_f32_dpp v132, v249, v132 quad_perm:[0,0,0,0] row_mask:0xf bank_mask:0xf// 00000000D96C: 0B0908FA FF0000F9
	v_mul_f32_dpp v133, v249, v133 quad_perm:[1,1,1,1] row_mask:0xf bank_mask:0xf// 00000000D974: 0B0B0AFA FF0055F9
	v_mul_f32_dpp v134, v249, v134 quad_perm:[2,2,2,2] row_mask:0xf bank_mask:0xf// 00000000D97C: 0B0D0CFA FF00AAF9
	v_mul_f32_dpp v135, v249, v135 quad_perm:[3,3,3,3] row_mask:0xf bank_mask:0xf// 00000000D984: 0B0F0EFA FF00FFF9
	v_mul_f32_dpp v136, v250, v136 quad_perm:[0,0,0,0] row_mask:0xf bank_mask:0xf// 00000000D98C: 0B1110FA FF0000FA
	v_mul_f32_dpp v137, v250, v137 quad_perm:[1,1,1,1] row_mask:0xf bank_mask:0xf// 00000000D994: 0B1312FA FF0055FA
	v_mul_f32_dpp v138, v250, v138 quad_perm:[2,2,2,2] row_mask:0xf bank_mask:0xf// 00000000D99C: 0B1514FA FF00AAFA
	v_mul_f32_dpp v139, v250, v139 quad_perm:[3,3,3,3] row_mask:0xf bank_mask:0xf// 00000000D9A4: 0B1716FA FF00FFFA
	v_mul_f32_dpp v140, v251, v140 quad_perm:[0,0,0,0] row_mask:0xf bank_mask:0xf// 00000000D9AC: 0B1918FA FF0000FB
	v_mul_f32_dpp v141, v251, v141 quad_perm:[1,1,1,1] row_mask:0xf bank_mask:0xf// 00000000D9B4: 0B1B1AFA FF0055FB
	v_mul_f32_dpp v142, v251, v142 quad_perm:[2,2,2,2] row_mask:0xf bank_mask:0xf// 00000000D9BC: 0B1D1CFA FF00AAFB
	v_mul_f32_dpp v143, v251, v143 quad_perm:[3,3,3,3] row_mask:0xf bank_mask:0xf// 00000000D9C4: 0B1F1EFA FF00FFFB
	buffer_load_dwordx4 a[20:23], v27, s[16:19], 0 offen offset:1024// 00000000D9CC: E05C1400 8084141B
	v_mov_b32_e32 v62, v128                                    // 00000000D9D4: 7E7C0380
	v_max3_f32 v62, v128, v129, v62                            // 00000000D9D8: D1D3003E 04FB0380
	v_max3_f32 v62, v130, v131, v62                            // 00000000D9E0: D1D3003E 04FB0782
	v_max3_f32 v62, v132, v133, v62                            // 00000000D9E8: D1D3003E 04FB0B84
	v_max3_f32 v62, v134, v135, v62                            // 00000000D9F0: D1D3003E 04FB0F86
	v_max3_f32 v62, v136, v137, v62                            // 00000000D9F8: D1D3003E 04FB1388
	v_max3_f32 v62, v138, v139, v62                            // 00000000DA00: D1D3003E 04FB178A
	v_max3_f32 v62, v140, v141, v62                            // 00000000DA08: D1D3003E 04FB1B8C
	v_max3_f32 v62, v142, v143, v62                            // 00000000DA10: D1D3003E 04FB1F8E
	ds_write_b32 v11, v62 offset:16896                         // 00000000DA18: D81A4200 00003E0B
	buffer_load_dwordx4 a[24:27], v28, s[16:19], 0 offen       // 00000000DA20: E05C1000 8084181C
	v_mul_u32_u24_dpp v41, v19, v68 row_newbcast:1 row_mask:0xf bank_mask:0xf// 00000000DA28: 105288FA FF015113
	v_mul_u32_u24_dpp v42, v19, v68 row_newbcast:5 row_mask:0xf bank_mask:0xf// 00000000DA30: 105488FA FF015513
	v_mul_u32_u24_dpp v43, v19, v68 row_newbcast:9 row_mask:0xf bank_mask:0xf// 00000000DA38: 105688FA FF015913
	v_mul_u32_u24_dpp v44, v19, v68 row_newbcast:13 row_mask:0xf bank_mask:0xf// 00000000DA40: 105888FA FF015D13
	v_add_u32_e32 v33, v41, v7                                 // 00000000DA48: 68420F29
	v_add_u32_e32 v34, v42, v7                                 // 00000000DA4C: 68440F2A
	v_add_u32_e32 v35, v43, v7                                 // 00000000DA50: 68460F2B
	v_add_u32_e32 v36, v44, v7                                 // 00000000DA54: 68480F2C
	v_mul_f32_e32 v224, v63, v224                              // 00000000DA58: 0BC1C13F
	v_mul_f32_e32 v225, v63, v225                              // 00000000DA5C: 0BC3C33F
	v_mul_f32_e32 v226, v63, v226                              // 00000000DA60: 0BC5C53F
	v_mul_f32_e32 v227, v63, v227                              // 00000000DA64: 0BC7C73F
	v_mul_f32_e32 v228, v63, v228                              // 00000000DA68: 0BC9C93F
	v_mul_f32_e32 v229, v63, v229                              // 00000000DA6C: 0BCBCB3F
	v_mul_f32_e32 v230, v63, v230                              // 00000000DA70: 0BCDCD3F
	v_mul_f32_e32 v231, v63, v231                              // 00000000DA74: 0BCFCF3F
	s_waitcnt lgkmcnt(0)                                       // 00000000DA78: BF8CC07F
	s_barrier                                                  // 00000000DA7C: BF8A0000
	ds_read_b32 v80, v10 offset:16896                          // 00000000DA80: D86C4200 5000000A
	ds_read_b32 v81, v10 offset:16960                          // 00000000DA88: D86C4240 5100000A
	ds_read_b32 v82, v10 offset:17024                          // 00000000DA90: D86C4280 5200000A
	ds_read_b32 v83, v10 offset:17088                          // 00000000DA98: D86C42C0 5300000A
	ds_read_b32 v84, v10 offset:17152                          // 00000000DAA0: D86C4300 5400000A
	ds_read_b32 v85, v10 offset:17216                          // 00000000DAA8: D86C4340 5500000A
	ds_read_b32 v86, v10 offset:17280                          // 00000000DAB0: D86C4380 5600000A
	ds_read_b32 v87, v10 offset:17344                          // 00000000DAB8: D86C43C0 5700000A
	ds_read_b32 v88, v10 offset:17408                          // 00000000DAC0: D86C4400 5800000A
	ds_read_b32 v89, v10 offset:17472                          // 00000000DAC8: D86C4440 5900000A
	ds_read_b32 v90, v10 offset:17536                          // 00000000DAD0: D86C4480 5A00000A
	ds_read_b32 v91, v10 offset:17600                          // 00000000DAD8: D86C44C0 5B00000A
	ds_read_b32 v92, v10 offset:17664                          // 00000000DAE0: D86C4500 5C00000A
	ds_read_b32 v93, v10 offset:17728                          // 00000000DAE8: D86C4540 5D00000A
	ds_read_b32 v94, v10 offset:17792                          // 00000000DAF0: D86C4580 5E00000A
	ds_read_b32 v95, v10 offset:17856                          // 00000000DAF8: D86C45C0 5F00000A
	buffer_load_dwordx4 a[28:31], v28, s[16:19], 0 offen offset:1024// 00000000DB00: E05C1400 80841C1C
	v_mul_f32_e32 v192, v58, v192                              // 00000000DB08: 0B81813A
	v_mul_f32_e32 v193, v58, v193                              // 00000000DB0C: 0B83833A
	v_mul_f32_e32 v194, v58, v194                              // 00000000DB10: 0B85853A
	v_mul_f32_e32 v195, v58, v195                              // 00000000DB14: 0B87873A
	v_mul_f32_e32 v196, v58, v196                              // 00000000DB18: 0B89893A
	v_mul_f32_e32 v197, v58, v197                              // 00000000DB1C: 0B8B8B3A
	v_mul_f32_e32 v198, v58, v198                              // 00000000DB20: 0B8D8D3A
	v_mul_f32_e32 v199, v58, v199                              // 00000000DB24: 0B8F8F3A
	s_waitcnt lgkmcnt(0)                                       // 00000000DB28: BF8CC07F
	v_max3_f32 v62, v80, v81, v62                              // 00000000DB2C: D1D3003E 04FAA350
	v_max3_f32 v62, v82, v83, v62                              // 00000000DB34: D1D3003E 04FAA752
	v_max3_f32 v62, v84, v85, v62                              // 00000000DB3C: D1D3003E 04FAAB54
	v_max3_f32 v62, v86, v87, v62                              // 00000000DB44: D1D3003E 04FAAF56
	v_max3_f32 v62, v88, v89, v62                              // 00000000DB4C: D1D3003E 04FAB358
	v_max3_f32 v62, v90, v91, v62                              // 00000000DB54: D1D3003E 04FAB75A
	v_max3_f32 v62, v92, v93, v62                              // 00000000DB5C: D1D3003E 04FABB5C
	v_max3_f32 v62, v94, v95, v62                              // 00000000DB64: D1D3003E 04FABF5E
	buffer_load_dwordx4 a[64:67], v33, s[20:23], 0 offen       // 00000000DB6C: E05C1000 80854021
	v_mov_b32_e32 v41, 0xff800000                              // 00000000DB74: 7E5202FF FF800000
	v_cmp_eq_u32_e64 s[40:41], v41, v14                        // 00000000DB7C: D0CA0028 00021D29
	s_nop 1                                                    // 00000000DB84: BF800001
	v_max_f32_e32 v18, v62, v14                                // 00000000DB88: 16241D3E
	v_mul_f32_e32 v67, s64, v18                                // 00000000DB8C: 0A862440
	v_fma_f32 v128, v128, s64, -v67                            // 00000000DB90: D1CB0080 850C8180
	v_fma_f32 v129, v129, s64, -v67                            // 00000000DB98: D1CB0081 850C8181
	v_fma_f32 v130, v130, s64, -v67                            // 00000000DBA0: D1CB0082 850C8182
	v_fma_f32 v131, v131, s64, -v67                            // 00000000DBA8: D1CB0083 850C8183
	v_fma_f32 v132, v132, s64, -v67                            // 00000000DBB0: D1CB0084 850C8184
	v_fma_f32 v133, v133, s64, -v67                            // 00000000DBB8: D1CB0085 850C8185
	v_fma_f32 v134, v134, s64, -v67                            // 00000000DBC0: D1CB0086 850C8186
	v_fma_f32 v135, v135, s64, -v67                            // 00000000DBC8: D1CB0087 850C8187
	v_fma_f32 v136, v136, s64, -v67                            // 00000000DBD0: D1CB0088 850C8188
	v_fma_f32 v137, v137, s64, -v67                            // 00000000DBD8: D1CB0089 850C8189
	v_fma_f32 v138, v138, s64, -v67                            // 00000000DBE0: D1CB008A 850C818A
	v_fma_f32 v139, v139, s64, -v67                            // 00000000DBE8: D1CB008B 850C818B
	v_fma_f32 v140, v140, s64, -v67                            // 00000000DBF0: D1CB008C 850C818C
	v_fma_f32 v141, v141, s64, -v67                            // 00000000DBF8: D1CB008D 850C818D
	v_fma_f32 v142, v142, s64, -v67                            // 00000000DC00: D1CB008E 850C818E
	v_fma_f32 v143, v143, s64, -v67                            // 00000000DC08: D1CB008F 850C818F
	buffer_load_dwordx4 a[68:71], v34, s[20:23], 0 offen       // 00000000DC10: E05C1000 80854422
	v_exp_f32_e32 v128, v128                                   // 00000000DC18: 7F004180
	v_exp_f32_e32 v129, v129                                   // 00000000DC1C: 7F024181
	v_exp_f32_e32 v130, v130                                   // 00000000DC20: 7F044182
	v_exp_f32_e32 v131, v131                                   // 00000000DC24: 7F064183
	v_exp_f32_e32 v132, v132                                   // 00000000DC28: 7F084184
	v_exp_f32_e32 v133, v133                                   // 00000000DC2C: 7F0A4185
	v_exp_f32_e32 v134, v134                                   // 00000000DC30: 7F0C4186
	v_exp_f32_e32 v135, v135                                   // 00000000DC34: 7F0E4187
	v_exp_f32_e32 v136, v136                                   // 00000000DC38: 7F104188
	v_exp_f32_e32 v137, v137                                   // 00000000DC3C: 7F124189
	v_exp_f32_e32 v138, v138                                   // 00000000DC40: 7F14418A
	v_exp_f32_e32 v139, v139                                   // 00000000DC44: 7F16418B
	v_exp_f32_e32 v140, v140                                   // 00000000DC48: 7F18418C
	v_exp_f32_e32 v141, v141                                   // 00000000DC4C: 7F1A418D
	v_exp_f32_e32 v142, v142                                   // 00000000DC50: 7F1C418E
	v_exp_f32_e32 v143, v143                                   // 00000000DC54: 7F1E418F
	buffer_load_dwordx4 a[72:75], v35, s[20:23], 0 offen       // 00000000DC58: E05C1000 80854823
	v_mul_f32_dpp v240, v252, v128 quad_perm:[0,0,0,0] row_mask:0xf bank_mask:0xf// 00000000DC60: 0BE100FA FF0000FC
	v_mul_f32_dpp v241, v252, v129 quad_perm:[1,1,1,1] row_mask:0xf bank_mask:0xf// 00000000DC68: 0BE302FA FF0055FC
	v_mul_f32_dpp v242, v252, v130 quad_perm:[2,2,2,2] row_mask:0xf bank_mask:0xf// 00000000DC70: 0BE504FA FF00AAFC
	v_mul_f32_dpp v243, v252, v131 quad_perm:[3,3,3,3] row_mask:0xf bank_mask:0xf// 00000000DC78: 0BE706FA FF00FFFC
	v_mul_f32_dpp v244, v253, v132 quad_perm:[0,0,0,0] row_mask:0xf bank_mask:0xf// 00000000DC80: 0BE908FA FF0000FD
	v_mul_f32_dpp v245, v253, v133 quad_perm:[1,1,1,1] row_mask:0xf bank_mask:0xf// 00000000DC88: 0BEB0AFA FF0055FD
	v_mul_f32_dpp v246, v253, v134 quad_perm:[2,2,2,2] row_mask:0xf bank_mask:0xf// 00000000DC90: 0BED0CFA FF00AAFD
	v_mul_f32_dpp v247, v253, v135 quad_perm:[3,3,3,3] row_mask:0xf bank_mask:0xf// 00000000DC98: 0BEF0EFA FF00FFFD
	v_mul_f32_dpp v248, v254, v136 quad_perm:[0,0,0,0] row_mask:0xf bank_mask:0xf// 00000000DCA0: 0BF110FA FF0000FE
	v_mul_f32_dpp v249, v254, v137 quad_perm:[1,1,1,1] row_mask:0xf bank_mask:0xf// 00000000DCA8: 0BF312FA FF0055FE
	v_mul_f32_dpp v250, v254, v138 quad_perm:[2,2,2,2] row_mask:0xf bank_mask:0xf// 00000000DCB0: 0BF514FA FF00AAFE
	v_mul_f32_dpp v251, v254, v139 quad_perm:[3,3,3,3] row_mask:0xf bank_mask:0xf// 00000000DCB8: 0BF716FA FF00FFFE
	v_mul_f32_dpp v252, v255, v140 quad_perm:[0,0,0,0] row_mask:0xf bank_mask:0xf// 00000000DCC0: 0BF918FA FF0000FF
	v_mul_f32_dpp v253, v255, v141 quad_perm:[1,1,1,1] row_mask:0xf bank_mask:0xf// 00000000DCC8: 0BFB1AFA FF0055FF
	v_mul_f32_dpp v254, v255, v142 quad_perm:[2,2,2,2] row_mask:0xf bank_mask:0xf// 00000000DCD0: 0BFD1CFA FF00AAFF
	v_mul_f32_dpp v255, v255, v143 quad_perm:[3,3,3,3] row_mask:0xf bank_mask:0xf// 00000000DCD8: 0BFF1EFA FF00FFFF
	v_mov_b32_e32 v62, 0x358637bd                              // 00000000DCE0: 7E7C02FF 358637BD
	v_max3_f32 v62, |v240|, |v241|, v62                        // 00000000DCE8: D1D3033E 04FBE3F0
	v_max3_f32 v62, |v242|, |v243|, v62                        // 00000000DCF0: D1D3033E 04FBE7F2
	v_max3_f32 v62, |v244|, |v245|, v62                        // 00000000DCF8: D1D3033E 04FBEBF4
	v_max3_f32 v62, |v246|, |v247|, v62                        // 00000000DD00: D1D3033E 04FBEFF6
	v_max3_f32 v62, |v248|, |v249|, v62                        // 00000000DD08: D1D3033E 04FBF3F8
	v_max3_f32 v62, |v250|, |v251|, v62                        // 00000000DD10: D1D3033E 04FBF7FA
	v_max3_f32 v62, |v252|, |v253|, v62                        // 00000000DD18: D1D3033E 04FBFBFC
	v_max3_f32 v62, |v254|, |v255|, v62                        // 00000000DD20: D1D3033E 04FBFFFE
	buffer_load_dwordx4 a[76:79], v36, s[20:23], 0 offen       // 00000000DD28: E05C1000 80854C24
	ds_write_b32 v11, v62 offset:20992                         // 00000000DD30: D81A5200 00003E0B
	v_sub_f32_e32 v63, v14, v18                                // 00000000DD38: 047E250E
	v_cndmask_b32_e64 v63, v63, 0, s[40:41]                    // 00000000DD3C: D100003F 00A1013F
	v_mov_b32_e32 v14, v18                                     // 00000000DD44: 7E1C0312
	v_mul_f32_e32 v63, s64, v63                                // 00000000DD48: 0A7E7E40
	v_exp_f32_e32 v63, v63                                     // 00000000DD4C: 7E7E413F
	s_waitcnt lgkmcnt(0)                                       // 00000000DD50: BF8CC07F
	s_barrier                                                  // 00000000DD54: BF8A0000
	ds_read_b32 v80, v10 offset:20992                          // 00000000DD58: D86C5200 5000000A
	ds_read_b32 v81, v10 offset:21056                          // 00000000DD60: D86C5240 5100000A
	ds_read_b32 v82, v10 offset:21120                          // 00000000DD68: D86C5280 5200000A
	ds_read_b32 v83, v10 offset:21184                          // 00000000DD70: D86C52C0 5300000A
	ds_read_b32 v84, v10 offset:21248                          // 00000000DD78: D86C5300 5400000A
	ds_read_b32 v85, v10 offset:21312                          // 00000000DD80: D86C5340 5500000A
	ds_read_b32 v86, v10 offset:21376                          // 00000000DD88: D86C5380 5600000A
	ds_read_b32 v87, v10 offset:21440                          // 00000000DD90: D86C53C0 5700000A
	ds_read_b32 v88, v10 offset:21504                          // 00000000DD98: D86C5400 5800000A
	ds_read_b32 v89, v10 offset:21568                          // 00000000DDA0: D86C5440 5900000A
	ds_read_b32 v90, v10 offset:21632                          // 00000000DDA8: D86C5480 5A00000A
	ds_read_b32 v91, v10 offset:21696                          // 00000000DDB0: D86C54C0 5B00000A
	ds_read_b32 v92, v10 offset:21760                          // 00000000DDB8: D86C5500 5C00000A
	ds_read_b32 v93, v10 offset:21824                          // 00000000DDC0: D86C5540 5D00000A
	ds_read_b32 v94, v10 offset:21888                          // 00000000DDC8: D86C5580 5E00000A
	ds_read_b32 v95, v10 offset:21952                          // 00000000DDD0: D86C55C0 5F00000A
	v_mul_f32_e32 v47, v63, v47                                // 00000000DDD8: 0A5E5F3F
	v_mov_b32_e32 v18, v128                                    // 00000000DDDC: 7E240380
	v_add_f32_e32 v18, v129, v18                               // 00000000DDE0: 02242581
	v_add_f32_e32 v18, v130, v18                               // 00000000DDE4: 02242582
	v_add_f32_e32 v18, v131, v18                               // 00000000DDE8: 02242583
	v_add_f32_e32 v18, v132, v18                               // 00000000DDEC: 02242584
	v_add_f32_e32 v18, v133, v18                               // 00000000DDF0: 02242585
	v_add_f32_e32 v18, v134, v18                               // 00000000DDF4: 02242586
	v_add_f32_e32 v18, v135, v18                               // 00000000DDF8: 02242587
	v_add_f32_e32 v18, v136, v18                               // 00000000DDFC: 02242588
	v_add_f32_e32 v18, v137, v18                               // 00000000DE00: 02242589
	v_add_f32_e32 v18, v138, v18                               // 00000000DE04: 0224258A
	v_add_f32_e32 v18, v139, v18                               // 00000000DE08: 0224258B
	v_add_f32_e32 v18, v140, v18                               // 00000000DE0C: 0224258C
	v_add_f32_e32 v18, v141, v18                               // 00000000DE10: 0224258D
	v_add_f32_e32 v18, v142, v18                               // 00000000DE14: 0224258E
	v_add_f32_e32 v18, v143, v18                               // 00000000DE18: 0224258F
	v_add_f32_e32 v47, v18, v47                                // 00000000DE1C: 025E5F12
	s_waitcnt lgkmcnt(0)                                       // 00000000DE20: BF8CC07F
	v_max3_f32 v62, |v80|, |v81|, v62                          // 00000000DE24: D1D3033E 04FAA350
	v_max3_f32 v62, |v82|, |v83|, v62                          // 00000000DE2C: D1D3033E 04FAA752
	v_max3_f32 v62, |v84|, |v85|, v62                          // 00000000DE34: D1D3033E 04FAAB54
	v_max3_f32 v62, |v86|, |v87|, v62                          // 00000000DE3C: D1D3033E 04FAAF56
	v_max3_f32 v62, |v88|, |v89|, v62                          // 00000000DE44: D1D3033E 04FAB358
	v_max3_f32 v62, |v90|, |v91|, v62                          // 00000000DE4C: D1D3033E 04FAB75A
	v_max3_f32 v62, |v92|, |v93|, v62                          // 00000000DE54: D1D3033E 04FABB5C
	v_max3_f32 v62, |v94|, |v95|, v62                          // 00000000DE5C: D1D3033E 04FABF5E
	s_nop 2                                                    // 00000000DE64: BF800002
	v_rcp_f32_e32 v62, v62                                     // 00000000DE68: 7E7C453E
	s_nop 1                                                    // 00000000DE6C: BF800001
	v_mul_f32_e32 v62, 0x43700000, v62                         // 00000000DE70: 0A7C7CFF 43700000
	v_mul_f32_e32 v128, v62, v240                              // 00000000DE78: 0B01E13E
	v_mul_f32_e32 v129, v62, v241                              // 00000000DE7C: 0B03E33E
	v_mul_f32_e32 v130, v62, v242                              // 00000000DE80: 0B05E53E
	v_mul_f32_e32 v131, v62, v243                              // 00000000DE84: 0B07E73E
	v_mul_f32_e32 v132, v62, v244                              // 00000000DE88: 0B09E93E
	v_mul_f32_e32 v133, v62, v245                              // 00000000DE8C: 0B0BEB3E
	v_mul_f32_e32 v134, v62, v246                              // 00000000DE90: 0B0DED3E
	v_mul_f32_e32 v135, v62, v247                              // 00000000DE94: 0B0FEF3E
	v_mul_f32_e32 v136, v62, v248                              // 00000000DE98: 0B11F13E
	v_mul_f32_e32 v137, v62, v249                              // 00000000DE9C: 0B13F33E
	v_mul_f32_e32 v138, v62, v250                              // 00000000DEA0: 0B15F53E
	v_mul_f32_e32 v139, v62, v251                              // 00000000DEA4: 0B17F73E
	v_mul_f32_e32 v140, v62, v252                              // 00000000DEA8: 0B19F93E
	v_mul_f32_e32 v141, v62, v253                              // 00000000DEAC: 0B1BFB3E
	v_mul_f32_e32 v142, v62, v254                              // 00000000DEB0: 0B1DFD3E
	v_mul_f32_e32 v143, v62, v255                              // 00000000DEB4: 0B1FFF3E
	v_cvt_pk_fp8_f32 v128, v128, v129                          // 00000000DEB8: D2A20080 00030380
	v_cvt_pk_fp8_f32 v128, v130, v131 op_sel:[0,0,1]           // 00000000DEC0: D2A24080 00030782
	v_cvt_pk_fp8_f32 v129, v132, v133                          // 00000000DEC8: D2A20081 00030B84
	v_cvt_pk_fp8_f32 v129, v134, v135 op_sel:[0,0,1]           // 00000000DED0: D2A24081 00030F86
	v_cvt_pk_fp8_f32 v130, v136, v137                          // 00000000DED8: D2A20082 00031388
	v_cvt_pk_fp8_f32 v130, v138, v139 op_sel:[0,0,1]           // 00000000DEE0: D2A24082 0003178A
	v_cvt_pk_fp8_f32 v131, v140, v141                          // 00000000DEE8: D2A20083 00031B8C
	v_cvt_pk_fp8_f32 v131, v142, v143 op_sel:[0,0,1]           // 00000000DEF0: D2A24083 00031F8E
	ds_write_b32 v13, v128 offset:25088                        // 00000000DEF8: D81A6200 0000800D
	ds_write_b32 v13, v129 offset:26112                        // 00000000DF00: D81A6600 0000810D
	ds_write_b32 v13, v130 offset:27136                        // 00000000DF08: D81A6A00 0000820D
	ds_write_b32 v13, v131 offset:28160                        // 00000000DF10: D81A6E00 0000830D
	v_add_f32_e32 v224, v224, v192                             // 00000000DF18: 03C181E0
	v_add_f32_e32 v225, v225, v193                             // 00000000DF1C: 03C383E1
	v_add_f32_e32 v226, v226, v194                             // 00000000DF20: 03C585E2
	v_add_f32_e32 v227, v227, v195                             // 00000000DF24: 03C787E3
	v_add_f32_e32 v228, v228, v196                             // 00000000DF28: 03C989E4
	v_add_f32_e32 v229, v229, v197                             // 00000000DF2C: 03CB8BE5
	v_add_f32_e32 v230, v230, v198                             // 00000000DF30: 03CD8DE6
	v_add_f32_e32 v231, v231, v199                             // 00000000DF34: 03CF8FE7
	v_rcp_f32_e32 v58, v62                                     // 00000000DF38: 7E74453E
	s_waitcnt lgkmcnt(0)                                       // 00000000DF3C: BF8CC07F
	s_barrier                                                  // 00000000DF40: BF8A0000
	ds_read_b64 v[128:129], v12 offset:25088                   // 00000000DF44: D8EC6200 8000000C
	ds_read_b64 v[130:131], v12 offset:25216                   // 00000000DF4C: D8EC6280 8200000C
	ds_read_b64 v[132:133], v12 offset:26112                   // 00000000DF54: D8EC6600 8400000C
	ds_read_b64 v[134:135], v12 offset:26240                   // 00000000DF5C: D8EC6680 8600000C
	ds_read_b64 v[136:137], v12 offset:27136                   // 00000000DF64: D8EC6A00 8800000C
	ds_read_b64 v[138:139], v12 offset:27264                   // 00000000DF6C: D8EC6A80 8A00000C
	ds_read_b64 v[140:141], v12 offset:28160                   // 00000000DF74: D8EC6E00 8C00000C
	ds_read_b64 v[142:143], v12 offset:28288                   // 00000000DF7C: D8EC6E80 8E00000C
	v_mov_b32_dpp v41, v53 row_shr:4 row_mask:0xf bank_mask:0xf// 00000000DF84: 7E5202FA FF011435
	v_mov_b32_dpp v42, v53 row_shl:4 row_mask:0xf bank_mask:0xf// 00000000DF8C: 7E5402FA FF010435
	v_cndmask_b32_e64 v248, v53, v41, s[44:45]                 // 00000000DF94: D10000F8 00B25335
	v_cndmask_b32_e64 v249, v42, v53, s[44:45]                 // 00000000DF9C: D10000F9 00B26B2A
	v_mov_b32_dpp v41, v248 row_shr:8 row_mask:0xf bank_mask:0xf// 00000000DFA4: 7E5202FA FF0118F8
	v_mov_b32_dpp v42, v248 row_shl:8 row_mask:0xf bank_mask:0xf// 00000000DFAC: 7E5402FA FF0108F8
	v_mov_b32_dpp v43, v249 row_shr:8 row_mask:0xf bank_mask:0xf// 00000000DFB4: 7E5602FA FF0118F9
	v_mov_b32_dpp v44, v249 row_shl:8 row_mask:0xf bank_mask:0xf// 00000000DFBC: 7E5802FA FF0108F9
	v_mov_b32_e32 v45, v248                                    // 00000000DFC4: 7E5A03F8
	v_mov_b32_e32 v46, v249                                    // 00000000DFC8: 7E5C03F9
	v_cndmask_b32_e64 v248, v45, v41, s[42:43]                 // 00000000DFCC: D10000F8 00AA532D
	v_cndmask_b32_e64 v250, v45, v42, s[78:79]                 // 00000000DFD4: D10000FA 013A552D
	v_cndmask_b32_e64 v249, v46, v43, s[42:43]                 // 00000000DFDC: D10000F9 00AA572E
	v_cndmask_b32_e64 v251, v46, v44, s[78:79]                 // 00000000DFE4: D10000FB 013A592E
	v_mov_b32_dpp v41, v73 row_shr:4 row_mask:0xf bank_mask:0xf// 00000000DFEC: 7E5202FA FF011449
	v_mov_b32_dpp v42, v73 row_shl:4 row_mask:0xf bank_mask:0xf// 00000000DFF4: 7E5402FA FF010449
	v_cndmask_b32_e64 v252, v73, v41, s[44:45]                 // 00000000DFFC: D10000FC 00B25349
	v_cndmask_b32_e64 v253, v42, v73, s[44:45]                 // 00000000E004: D10000FD 00B2932A
	v_mov_b32_dpp v41, v252 row_shr:8 row_mask:0xf bank_mask:0xf// 00000000E00C: 7E5202FA FF0118FC
	v_mov_b32_dpp v42, v252 row_shl:8 row_mask:0xf bank_mask:0xf// 00000000E014: 7E5402FA FF0108FC
	v_mov_b32_dpp v43, v253 row_shr:8 row_mask:0xf bank_mask:0xf// 00000000E01C: 7E5602FA FF0118FD
	v_mov_b32_dpp v44, v253 row_shl:8 row_mask:0xf bank_mask:0xf// 00000000E024: 7E5802FA FF0108FD
	v_mov_b32_e32 v45, v252                                    // 00000000E02C: 7E5A03FC
	v_mov_b32_e32 v46, v253                                    // 00000000E030: 7E5C03FD
	v_cndmask_b32_e64 v252, v45, v41, s[42:43]                 // 00000000E034: D10000FC 00AA532D
	v_cndmask_b32_e64 v254, v45, v42, s[78:79]                 // 00000000E03C: D10000FE 013A552D
	v_cndmask_b32_e64 v253, v46, v43, s[42:43]                 // 00000000E044: D10000FD 00AA572E
	v_cndmask_b32_e64 v255, v46, v44, s[78:79]                 // 00000000E04C: D10000FF 013A592E
	v_mul_f32_e32 v144, v55, v144                              // 00000000E054: 0B212137
	v_mul_f32_e32 v145, v55, v145                              // 00000000E058: 0B232337
	v_mul_f32_e32 v146, v55, v146                              // 00000000E05C: 0B252537
	v_mul_f32_e32 v147, v55, v147                              // 00000000E060: 0B272737
	v_mul_f32_e32 v148, v55, v148                              // 00000000E064: 0B292937
	v_mul_f32_e32 v149, v55, v149                              // 00000000E068: 0B2B2B37
	v_mul_f32_e32 v150, v55, v150                              // 00000000E06C: 0B2D2D37
	v_mul_f32_e32 v151, v55, v151                              // 00000000E070: 0B2F2F37
	v_mul_f32_e32 v152, v55, v152                              // 00000000E074: 0B313137
	v_mul_f32_e32 v153, v55, v153                              // 00000000E078: 0B333337
	v_mul_f32_e32 v154, v55, v154                              // 00000000E07C: 0B353537
	v_mul_f32_e32 v155, v55, v155                              // 00000000E080: 0B373737
	v_mul_f32_e32 v156, v55, v156                              // 00000000E084: 0B393937
	v_mul_f32_e32 v157, v55, v157                              // 00000000E088: 0B3B3B37
	v_mul_f32_e32 v158, v55, v158                              // 00000000E08C: 0B3D3D37
	v_mul_f32_e32 v159, v55, v159                              // 00000000E090: 0B3F3F37
	v_mul_f32_dpp v144, v248, v144 quad_perm:[0,0,0,0] row_mask:0xf bank_mask:0xf// 00000000E094: 0B2120FA FF0000F8
	v_mul_f32_dpp v145, v248, v145 quad_perm:[1,1,1,1] row_mask:0xf bank_mask:0xf// 00000000E09C: 0B2322FA FF0055F8
	v_mul_f32_dpp v146, v248, v146 quad_perm:[2,2,2,2] row_mask:0xf bank_mask:0xf// 00000000E0A4: 0B2524FA FF00AAF8
	v_mul_f32_dpp v147, v248, v147 quad_perm:[3,3,3,3] row_mask:0xf bank_mask:0xf// 00000000E0AC: 0B2726FA FF00FFF8
	v_mul_f32_dpp v148, v249, v148 quad_perm:[0,0,0,0] row_mask:0xf bank_mask:0xf// 00000000E0B4: 0B2928FA FF0000F9
	v_mul_f32_dpp v149, v249, v149 quad_perm:[1,1,1,1] row_mask:0xf bank_mask:0xf// 00000000E0BC: 0B2B2AFA FF0055F9
	v_mul_f32_dpp v150, v249, v150 quad_perm:[2,2,2,2] row_mask:0xf bank_mask:0xf// 00000000E0C4: 0B2D2CFA FF00AAF9
	v_mul_f32_dpp v151, v249, v151 quad_perm:[3,3,3,3] row_mask:0xf bank_mask:0xf// 00000000E0CC: 0B2F2EFA FF00FFF9
	v_mul_f32_dpp v152, v250, v152 quad_perm:[0,0,0,0] row_mask:0xf bank_mask:0xf// 00000000E0D4: 0B3130FA FF0000FA
	v_mul_f32_dpp v153, v250, v153 quad_perm:[1,1,1,1] row_mask:0xf bank_mask:0xf// 00000000E0DC: 0B3332FA FF0055FA
	v_mul_f32_dpp v154, v250, v154 quad_perm:[2,2,2,2] row_mask:0xf bank_mask:0xf// 00000000E0E4: 0B3534FA FF00AAFA
	v_mul_f32_dpp v155, v250, v155 quad_perm:[3,3,3,3] row_mask:0xf bank_mask:0xf// 00000000E0EC: 0B3736FA FF00FFFA
	v_mul_f32_dpp v156, v251, v156 quad_perm:[0,0,0,0] row_mask:0xf bank_mask:0xf// 00000000E0F4: 0B3938FA FF0000FB
	v_mul_f32_dpp v157, v251, v157 quad_perm:[1,1,1,1] row_mask:0xf bank_mask:0xf// 00000000E0FC: 0B3B3AFA FF0055FB
	v_mul_f32_dpp v158, v251, v158 quad_perm:[2,2,2,2] row_mask:0xf bank_mask:0xf// 00000000E104: 0B3D3CFA FF00AAFB
	v_mul_f32_dpp v159, v251, v159 quad_perm:[3,3,3,3] row_mask:0xf bank_mask:0xf// 00000000E10C: 0B3F3EFA FF00FFFB
	v_mov_b32_e32 v62, v144                                    // 00000000E114: 7E7C0390
	v_max3_f32 v62, v144, v145, v62                            // 00000000E118: D1D3003E 04FB2390
	v_max3_f32 v62, v146, v147, v62                            // 00000000E120: D1D3003E 04FB2792
	v_max3_f32 v62, v148, v149, v62                            // 00000000E128: D1D3003E 04FB2B94
	v_max3_f32 v62, v150, v151, v62                            // 00000000E130: D1D3003E 04FB2F96
	v_max3_f32 v62, v152, v153, v62                            // 00000000E138: D1D3003E 04FB3398
	v_max3_f32 v62, v154, v155, v62                            // 00000000E140: D1D3003E 04FB379A
	v_max3_f32 v62, v156, v157, v62                            // 00000000E148: D1D3003E 04FB3B9C
	v_max3_f32 v62, v158, v159, v62                            // 00000000E150: D1D3003E 04FB3F9E
	ds_write_b32 v11, v62 offset:16896                         // 00000000E158: D81A4200 00003E0B
	v_mul_f32_e32 v232, v64, v232                              // 00000000E160: 0BD1D140
	v_mul_f32_e32 v233, v64, v233                              // 00000000E164: 0BD3D340
	v_mul_f32_e32 v234, v64, v234                              // 00000000E168: 0BD5D540
	v_mul_f32_e32 v235, v64, v235                              // 00000000E16C: 0BD7D740
	v_mul_f32_e32 v236, v64, v236                              // 00000000E170: 0BD9D940
	v_mul_f32_e32 v237, v64, v237                              // 00000000E174: 0BDBDB40
	v_mul_f32_e32 v238, v64, v238                              // 00000000E178: 0BDDDD40
	v_mul_f32_e32 v239, v64, v239                              // 00000000E17C: 0BDFDF40
	s_waitcnt lgkmcnt(0)                                       // 00000000E180: BF8CC07F
	s_barrier                                                  // 00000000E184: BF8A0000
	ds_read_b32 v80, v10 offset:16896                          // 00000000E188: D86C4200 5000000A
	ds_read_b32 v81, v10 offset:16960                          // 00000000E190: D86C4240 5100000A
	ds_read_b32 v82, v10 offset:17024                          // 00000000E198: D86C4280 5200000A
	ds_read_b32 v83, v10 offset:17088                          // 00000000E1A0: D86C42C0 5300000A
	ds_read_b32 v84, v10 offset:17152                          // 00000000E1A8: D86C4300 5400000A
	ds_read_b32 v85, v10 offset:17216                          // 00000000E1B0: D86C4340 5500000A
	ds_read_b32 v86, v10 offset:17280                          // 00000000E1B8: D86C4380 5600000A
	ds_read_b32 v87, v10 offset:17344                          // 00000000E1C0: D86C43C0 5700000A
	ds_read_b32 v88, v10 offset:17408                          // 00000000E1C8: D86C4400 5800000A
	ds_read_b32 v89, v10 offset:17472                          // 00000000E1D0: D86C4440 5900000A
	ds_read_b32 v90, v10 offset:17536                          // 00000000E1D8: D86C4480 5A00000A
	ds_read_b32 v91, v10 offset:17600                          // 00000000E1E0: D86C44C0 5B00000A
	ds_read_b32 v92, v10 offset:17664                          // 00000000E1E8: D86C4500 5C00000A
	ds_read_b32 v93, v10 offset:17728                          // 00000000E1F0: D86C4540 5D00000A
	ds_read_b32 v94, v10 offset:17792                          // 00000000E1F8: D86C4580 5E00000A
	ds_read_b32 v95, v10 offset:17856                          // 00000000E200: D86C45C0 5F00000A
	v_mul_f32_e32 v200, v59, v200                              // 00000000E208: 0B91913B
	v_mul_f32_e32 v201, v59, v201                              // 00000000E20C: 0B93933B
	v_mul_f32_e32 v202, v59, v202                              // 00000000E210: 0B95953B
	v_mul_f32_e32 v203, v59, v203                              // 00000000E214: 0B97973B
	v_mul_f32_e32 v204, v59, v204                              // 00000000E218: 0B99993B
	v_mul_f32_e32 v205, v59, v205                              // 00000000E21C: 0B9B9B3B
	v_mul_f32_e32 v206, v59, v206                              // 00000000E220: 0B9D9D3B
	v_mul_f32_e32 v207, v59, v207                              // 00000000E224: 0B9F9F3B
	s_waitcnt lgkmcnt(0)                                       // 00000000E228: BF8CC07F
	v_max3_f32 v62, v80, v81, v62                              // 00000000E22C: D1D3003E 04FAA350
	v_max3_f32 v62, v82, v83, v62                              // 00000000E234: D1D3003E 04FAA752
	v_max3_f32 v62, v84, v85, v62                              // 00000000E23C: D1D3003E 04FAAB54
	v_max3_f32 v62, v86, v87, v62                              // 00000000E244: D1D3003E 04FAAF56
	v_max3_f32 v62, v88, v89, v62                              // 00000000E24C: D1D3003E 04FAB358
	v_max3_f32 v62, v90, v91, v62                              // 00000000E254: D1D3003E 04FAB75A
	v_max3_f32 v62, v92, v93, v62                              // 00000000E25C: D1D3003E 04FABB5C
	v_max3_f32 v62, v94, v95, v62                              // 00000000E264: D1D3003E 04FABF5E
	v_mov_b32_e32 v41, 0xff800000                              // 00000000E26C: 7E5202FF FF800000
	v_cmp_eq_u32_e64 s[40:41], v41, v15                        // 00000000E274: D0CA0028 00021F29
	s_nop 1                                                    // 00000000E27C: BF800001
	v_max_f32_e32 v18, v62, v15                                // 00000000E280: 16241F3E
	v_mul_f32_e32 v67, s64, v18                                // 00000000E284: 0A862440
	v_fma_f32 v144, v144, s64, -v67                            // 00000000E288: D1CB0090 850C8190
	v_fma_f32 v145, v145, s64, -v67                            // 00000000E290: D1CB0091 850C8191
	v_fma_f32 v146, v146, s64, -v67                            // 00000000E298: D1CB0092 850C8192
	v_fma_f32 v147, v147, s64, -v67                            // 00000000E2A0: D1CB0093 850C8193
	v_fma_f32 v148, v148, s64, -v67                            // 00000000E2A8: D1CB0094 850C8194
	v_fma_f32 v149, v149, s64, -v67                            // 00000000E2B0: D1CB0095 850C8195
	v_fma_f32 v150, v150, s64, -v67                            // 00000000E2B8: D1CB0096 850C8196
	v_fma_f32 v151, v151, s64, -v67                            // 00000000E2C0: D1CB0097 850C8197
	v_fma_f32 v152, v152, s64, -v67                            // 00000000E2C8: D1CB0098 850C8198
	v_fma_f32 v153, v153, s64, -v67                            // 00000000E2D0: D1CB0099 850C8199
	v_fma_f32 v154, v154, s64, -v67                            // 00000000E2D8: D1CB009A 850C819A
	v_fma_f32 v155, v155, s64, -v67                            // 00000000E2E0: D1CB009B 850C819B
	v_fma_f32 v156, v156, s64, -v67                            // 00000000E2E8: D1CB009C 850C819C
	v_fma_f32 v157, v157, s64, -v67                            // 00000000E2F0: D1CB009D 850C819D
	v_fma_f32 v158, v158, s64, -v67                            // 00000000E2F8: D1CB009E 850C819E
	v_fma_f32 v159, v159, s64, -v67                            // 00000000E300: D1CB009F 850C819F
	v_exp_f32_e32 v144, v144                                   // 00000000E308: 7F204190
	v_exp_f32_e32 v145, v145                                   // 00000000E30C: 7F224191
	v_exp_f32_e32 v146, v146                                   // 00000000E310: 7F244192
	v_exp_f32_e32 v147, v147                                   // 00000000E314: 7F264193
	v_exp_f32_e32 v148, v148                                   // 00000000E318: 7F284194
	v_exp_f32_e32 v149, v149                                   // 00000000E31C: 7F2A4195
	v_exp_f32_e32 v150, v150                                   // 00000000E320: 7F2C4196
	v_exp_f32_e32 v151, v151                                   // 00000000E324: 7F2E4197
	v_exp_f32_e32 v152, v152                                   // 00000000E328: 7F304198
	v_exp_f32_e32 v153, v153                                   // 00000000E32C: 7F324199
	v_exp_f32_e32 v154, v154                                   // 00000000E330: 7F34419A
	v_exp_f32_e32 v155, v155                                   // 00000000E334: 7F36419B
	v_exp_f32_e32 v156, v156                                   // 00000000E338: 7F38419C
	v_exp_f32_e32 v157, v157                                   // 00000000E33C: 7F3A419D
	v_exp_f32_e32 v158, v158                                   // 00000000E340: 7F3C419E
	v_exp_f32_e32 v159, v159                                   // 00000000E344: 7F3E419F
	v_mul_f32_dpp v240, v252, v144 quad_perm:[0,0,0,0] row_mask:0xf bank_mask:0xf// 00000000E348: 0BE120FA FF0000FC
	v_mul_f32_dpp v241, v252, v145 quad_perm:[1,1,1,1] row_mask:0xf bank_mask:0xf// 00000000E350: 0BE322FA FF0055FC
	v_mul_f32_dpp v242, v252, v146 quad_perm:[2,2,2,2] row_mask:0xf bank_mask:0xf// 00000000E358: 0BE524FA FF00AAFC
	v_mul_f32_dpp v243, v252, v147 quad_perm:[3,3,3,3] row_mask:0xf bank_mask:0xf// 00000000E360: 0BE726FA FF00FFFC
	v_mul_f32_dpp v244, v253, v148 quad_perm:[0,0,0,0] row_mask:0xf bank_mask:0xf// 00000000E368: 0BE928FA FF0000FD
	v_mul_f32_dpp v245, v253, v149 quad_perm:[1,1,1,1] row_mask:0xf bank_mask:0xf// 00000000E370: 0BEB2AFA FF0055FD
	v_mul_f32_dpp v246, v253, v150 quad_perm:[2,2,2,2] row_mask:0xf bank_mask:0xf// 00000000E378: 0BED2CFA FF00AAFD
	v_mul_f32_dpp v247, v253, v151 quad_perm:[3,3,3,3] row_mask:0xf bank_mask:0xf// 00000000E380: 0BEF2EFA FF00FFFD
	v_mul_f32_dpp v248, v254, v152 quad_perm:[0,0,0,0] row_mask:0xf bank_mask:0xf// 00000000E388: 0BF130FA FF0000FE
	v_mul_f32_dpp v249, v254, v153 quad_perm:[1,1,1,1] row_mask:0xf bank_mask:0xf// 00000000E390: 0BF332FA FF0055FE
	v_mul_f32_dpp v250, v254, v154 quad_perm:[2,2,2,2] row_mask:0xf bank_mask:0xf// 00000000E398: 0BF534FA FF00AAFE
	v_mul_f32_dpp v251, v254, v155 quad_perm:[3,3,3,3] row_mask:0xf bank_mask:0xf// 00000000E3A0: 0BF736FA FF00FFFE
	v_mul_f32_dpp v252, v255, v156 quad_perm:[0,0,0,0] row_mask:0xf bank_mask:0xf// 00000000E3A8: 0BF938FA FF0000FF
	v_mul_f32_dpp v253, v255, v157 quad_perm:[1,1,1,1] row_mask:0xf bank_mask:0xf// 00000000E3B0: 0BFB3AFA FF0055FF
	v_mul_f32_dpp v254, v255, v158 quad_perm:[2,2,2,2] row_mask:0xf bank_mask:0xf// 00000000E3B8: 0BFD3CFA FF00AAFF
	v_mul_f32_dpp v255, v255, v159 quad_perm:[3,3,3,3] row_mask:0xf bank_mask:0xf// 00000000E3C0: 0BFF3EFA FF00FFFF
	v_mov_b32_e32 v62, 0x358637bd                              // 00000000E3C8: 7E7C02FF 358637BD
	v_max3_f32 v62, |v240|, |v241|, v62                        // 00000000E3D0: D1D3033E 04FBE3F0
	v_max3_f32 v62, |v242|, |v243|, v62                        // 00000000E3D8: D1D3033E 04FBE7F2
	v_max3_f32 v62, |v244|, |v245|, v62                        // 00000000E3E0: D1D3033E 04FBEBF4
	v_max3_f32 v62, |v246|, |v247|, v62                        // 00000000E3E8: D1D3033E 04FBEFF6
	v_max3_f32 v62, |v248|, |v249|, v62                        // 00000000E3F0: D1D3033E 04FBF3F8
	v_max3_f32 v62, |v250|, |v251|, v62                        // 00000000E3F8: D1D3033E 04FBF7FA
	v_max3_f32 v62, |v252|, |v253|, v62                        // 00000000E400: D1D3033E 04FBFBFC
	v_max3_f32 v62, |v254|, |v255|, v62                        // 00000000E408: D1D3033E 04FBFFFE
	ds_write_b32 v11, v62 offset:20992                         // 00000000E410: D81A5200 00003E0B
	v_sub_f32_e32 v64, v15, v18                                // 00000000E418: 0480250F
	v_cndmask_b32_e64 v64, v64, 0, s[40:41]                    // 00000000E41C: D1000040 00A10140
	v_mov_b32_e32 v15, v18                                     // 00000000E424: 7E1E0312
	v_mul_f32_e32 v64, s64, v64                                // 00000000E428: 0A808040
	v_exp_f32_e32 v64, v64                                     // 00000000E42C: 7E804140
	s_waitcnt lgkmcnt(0)                                       // 00000000E430: BF8CC07F
	s_barrier                                                  // 00000000E434: BF8A0000
	ds_read_b32 v80, v10 offset:20992                          // 00000000E438: D86C5200 5000000A
	ds_read_b32 v81, v10 offset:21056                          // 00000000E440: D86C5240 5100000A
	ds_read_b32 v82, v10 offset:21120                          // 00000000E448: D86C5280 5200000A
	ds_read_b32 v83, v10 offset:21184                          // 00000000E450: D86C52C0 5300000A
	ds_read_b32 v84, v10 offset:21248                          // 00000000E458: D86C5300 5400000A
	ds_read_b32 v85, v10 offset:21312                          // 00000000E460: D86C5340 5500000A
	ds_read_b32 v86, v10 offset:21376                          // 00000000E468: D86C5380 5600000A
	ds_read_b32 v87, v10 offset:21440                          // 00000000E470: D86C53C0 5700000A
	ds_read_b32 v88, v10 offset:21504                          // 00000000E478: D86C5400 5800000A
	ds_read_b32 v89, v10 offset:21568                          // 00000000E480: D86C5440 5900000A
	ds_read_b32 v90, v10 offset:21632                          // 00000000E488: D86C5480 5A00000A
	ds_read_b32 v91, v10 offset:21696                          // 00000000E490: D86C54C0 5B00000A
	ds_read_b32 v92, v10 offset:21760                          // 00000000E498: D86C5500 5C00000A
	ds_read_b32 v93, v10 offset:21824                          // 00000000E4A0: D86C5540 5D00000A
	ds_read_b32 v94, v10 offset:21888                          // 00000000E4A8: D86C5580 5E00000A
	ds_read_b32 v95, v10 offset:21952                          // 00000000E4B0: D86C55C0 5F00000A
	v_mul_f32_e32 v48, v64, v48                                // 00000000E4B8: 0A606140
	v_mov_b32_e32 v18, v144                                    // 00000000E4BC: 7E240390
	v_add_f32_e32 v18, v145, v18                               // 00000000E4C0: 02242591
	v_add_f32_e32 v18, v146, v18                               // 00000000E4C4: 02242592
	v_add_f32_e32 v18, v147, v18                               // 00000000E4C8: 02242593
	v_add_f32_e32 v18, v148, v18                               // 00000000E4CC: 02242594
	v_add_f32_e32 v18, v149, v18                               // 00000000E4D0: 02242595
	v_add_f32_e32 v18, v150, v18                               // 00000000E4D4: 02242596
	v_add_f32_e32 v18, v151, v18                               // 00000000E4D8: 02242597
	v_add_f32_e32 v18, v152, v18                               // 00000000E4DC: 02242598
	v_add_f32_e32 v18, v153, v18                               // 00000000E4E0: 02242599
	v_add_f32_e32 v18, v154, v18                               // 00000000E4E4: 0224259A
	v_add_f32_e32 v18, v155, v18                               // 00000000E4E8: 0224259B
	v_add_f32_e32 v18, v156, v18                               // 00000000E4EC: 0224259C
	v_add_f32_e32 v18, v157, v18                               // 00000000E4F0: 0224259D
	v_add_f32_e32 v18, v158, v18                               // 00000000E4F4: 0224259E
	v_add_f32_e32 v18, v159, v18                               // 00000000E4F8: 0224259F
	v_add_f32_e32 v48, v18, v48                                // 00000000E4FC: 02606112
	s_waitcnt lgkmcnt(0)                                       // 00000000E500: BF8CC07F
	v_max3_f32 v62, |v80|, |v81|, v62                          // 00000000E504: D1D3033E 04FAA350
	v_max3_f32 v62, |v82|, |v83|, v62                          // 00000000E50C: D1D3033E 04FAA752
	v_max3_f32 v62, |v84|, |v85|, v62                          // 00000000E514: D1D3033E 04FAAB54
	v_max3_f32 v62, |v86|, |v87|, v62                          // 00000000E51C: D1D3033E 04FAAF56
	v_max3_f32 v62, |v88|, |v89|, v62                          // 00000000E524: D1D3033E 04FAB358
	v_max3_f32 v62, |v90|, |v91|, v62                          // 00000000E52C: D1D3033E 04FAB75A
	v_max3_f32 v62, |v92|, |v93|, v62                          // 00000000E534: D1D3033E 04FABB5C
	v_max3_f32 v62, |v94|, |v95|, v62                          // 00000000E53C: D1D3033E 04FABF5E
	s_nop 2                                                    // 00000000E544: BF800002
	v_rcp_f32_e32 v62, v62                                     // 00000000E548: 7E7C453E
	s_nop 1                                                    // 00000000E54C: BF800001
	v_mul_f32_e32 v62, 0x43700000, v62                         // 00000000E550: 0A7C7CFF 43700000
	v_mul_f32_e32 v144, v62, v240                              // 00000000E558: 0B21E13E
	v_mul_f32_e32 v145, v62, v241                              // 00000000E55C: 0B23E33E
	v_mul_f32_e32 v146, v62, v242                              // 00000000E560: 0B25E53E
	v_mul_f32_e32 v147, v62, v243                              // 00000000E564: 0B27E73E
	v_mul_f32_e32 v148, v62, v244                              // 00000000E568: 0B29E93E
	v_mul_f32_e32 v149, v62, v245                              // 00000000E56C: 0B2BEB3E
	v_mul_f32_e32 v150, v62, v246                              // 00000000E570: 0B2DED3E
	v_mul_f32_e32 v151, v62, v247                              // 00000000E574: 0B2FEF3E
	v_mul_f32_e32 v152, v62, v248                              // 00000000E578: 0B31F13E
	v_mul_f32_e32 v153, v62, v249                              // 00000000E57C: 0B33F33E
	v_mul_f32_e32 v154, v62, v250                              // 00000000E580: 0B35F53E
	v_mul_f32_e32 v155, v62, v251                              // 00000000E584: 0B37F73E
	v_mul_f32_e32 v156, v62, v252                              // 00000000E588: 0B39F93E
	v_mul_f32_e32 v157, v62, v253                              // 00000000E58C: 0B3BFB3E
	v_mul_f32_e32 v158, v62, v254                              // 00000000E590: 0B3DFD3E
	v_mul_f32_e32 v159, v62, v255                              // 00000000E594: 0B3FFF3E
	v_cvt_pk_fp8_f32 v144, v144, v145                          // 00000000E598: D2A20090 00032390
	v_cvt_pk_fp8_f32 v144, v146, v147 op_sel:[0,0,1]           // 00000000E5A0: D2A24090 00032792
	v_cvt_pk_fp8_f32 v145, v148, v149                          // 00000000E5A8: D2A20091 00032B94
	v_cvt_pk_fp8_f32 v145, v150, v151 op_sel:[0,0,1]           // 00000000E5B0: D2A24091 00032F96
	v_cvt_pk_fp8_f32 v146, v152, v153                          // 00000000E5B8: D2A20092 00033398
	v_cvt_pk_fp8_f32 v146, v154, v155 op_sel:[0,0,1]           // 00000000E5C0: D2A24092 0003379A
	v_cvt_pk_fp8_f32 v147, v156, v157                          // 00000000E5C8: D2A20093 00033B9C
	v_cvt_pk_fp8_f32 v147, v158, v159 op_sel:[0,0,1]           // 00000000E5D0: D2A24093 00033F9E
	ds_write_b32 v13, v144 offset:29184                        // 00000000E5D8: D81A7200 0000900D
	ds_write_b32 v13, v145 offset:30208                        // 00000000E5E0: D81A7600 0000910D
	ds_write_b32 v13, v146 offset:31232                        // 00000000E5E8: D81A7A00 0000920D
	ds_write_b32 v13, v147 offset:32256                        // 00000000E5F0: D81A7E00 0000930D
	v_add_f32_e32 v232, v232, v200                             // 00000000E5F8: 03D191E8
	v_add_f32_e32 v233, v233, v201                             // 00000000E5FC: 03D393E9
	v_add_f32_e32 v234, v234, v202                             // 00000000E600: 03D595EA
	v_add_f32_e32 v235, v235, v203                             // 00000000E604: 03D797EB
	v_add_f32_e32 v236, v236, v204                             // 00000000E608: 03D999EC
	v_add_f32_e32 v237, v237, v205                             // 00000000E60C: 03DB9BED
	v_add_f32_e32 v238, v238, v206                             // 00000000E610: 03DD9DEE
	v_add_f32_e32 v239, v239, v207                             // 00000000E614: 03DF9FEF
	v_rcp_f32_e32 v59, v62                                     // 00000000E618: 7E76453E
	s_waitcnt lgkmcnt(0)                                       // 00000000E61C: BF8CC07F
	s_barrier                                                  // 00000000E620: BF8A0000
	ds_read_b64 v[144:145], v12 offset:29184                   // 00000000E624: D8EC7200 9000000C
	ds_read_b64 v[146:147], v12 offset:29312                   // 00000000E62C: D8EC7280 9200000C
	ds_read_b64 v[148:149], v12 offset:30208                   // 00000000E634: D8EC7600 9400000C
	ds_read_b64 v[150:151], v12 offset:30336                   // 00000000E63C: D8EC7680 9600000C
	ds_read_b64 v[152:153], v12 offset:31232                   // 00000000E644: D8EC7A00 9800000C
	ds_read_b64 v[154:155], v12 offset:31360                   // 00000000E64C: D8EC7A80 9A00000C
	ds_read_b64 v[156:157], v12 offset:32256                   // 00000000E654: D8EC7E00 9C00000C
	ds_read_b64 v[158:159], v12 offset:32384                   // 00000000E65C: D8EC7E80 9E00000C
	s_waitcnt vmcnt(15)                                        // 00000000E664: BF8C0F7F
	v_mfma_f32_16x16x32_fp8_fp8 v[192:195], a[96:97], v[128:129], 0// 00000000E668: D3F300C0 0A030160
	buffer_load_dwordx4 a[80:83], v33, s[20:23], 0 offen offset:1024// 00000000E670: E05C1400 80855021
	v_mfma_f32_16x16x32_fp8_fp8 v[192:195], a[98:99], v[130:131], v[192:195]// 00000000E678: D3F300C0 0F030562
	v_mfma_f32_16x16x32_fp8_fp8 v[192:195], a[100:101], v[132:133], v[192:195]// 00000000E680: D3F300C0 0F030964
	v_mfma_f32_16x16x32_fp8_fp8 v[192:195], a[102:103], v[134:135], v[192:195]// 00000000E688: D3F300C0 0F030D66
	v_mfma_f32_16x16x32_fp8_fp8 v[192:195], a[104:105], v[136:137], v[192:195]// 00000000E690: D3F300C0 0F031168
	buffer_load_dwordx4 a[84:87], v34, s[20:23], 0 offen offset:1024// 00000000E698: E05C1400 80855422
	v_mfma_f32_16x16x32_fp8_fp8 v[192:195], a[106:107], v[138:139], v[192:195]// 00000000E6A0: D3F300C0 0F03156A
	v_mfma_f32_16x16x32_fp8_fp8 v[192:195], a[108:109], v[140:141], v[192:195]// 00000000E6A8: D3F300C0 0F03196C
	v_mfma_f32_16x16x32_fp8_fp8 v[192:195], a[110:111], v[142:143], v[192:195]// 00000000E6B0: D3F300C0 0F031D6E
	v_mfma_f32_16x16x32_fp8_fp8 v[196:199], a[112:113], v[128:129], 0// 00000000E6B8: D3F300C4 0A030170
	buffer_load_dwordx4 a[88:91], v35, s[20:23], 0 offen offset:1024// 00000000E6C0: E05C1400 80855823
	v_mfma_f32_16x16x32_fp8_fp8 v[196:199], a[114:115], v[130:131], v[196:199]// 00000000E6C8: D3F300C4 0F130572
	v_mfma_f32_16x16x32_fp8_fp8 v[196:199], a[116:117], v[132:133], v[196:199]// 00000000E6D0: D3F300C4 0F130974
	v_mfma_f32_16x16x32_fp8_fp8 v[196:199], a[118:119], v[134:135], v[196:199]// 00000000E6D8: D3F300C4 0F130D76
	v_mfma_f32_16x16x32_fp8_fp8 v[196:199], a[120:121], v[136:137], v[196:199]// 00000000E6E0: D3F300C4 0F131178
	buffer_load_dwordx4 a[92:95], v36, s[20:23], 0 offen offset:1024// 00000000E6E8: E05C1400 80855C24
	v_mfma_f32_16x16x32_fp8_fp8 v[196:199], a[122:123], v[138:139], v[196:199]// 00000000E6F0: D3F300C4 0F13157A
	v_mfma_f32_16x16x32_fp8_fp8 v[196:199], a[124:125], v[140:141], v[196:199]// 00000000E6F8: D3F300C4 0F13197C
	s_lshr_b32 s57, s70, 4                                     // 00000000E700: 8F398446
	s_add_u32 s57, 48, s57                                     // 00000000E704: 803939B0
	v_mfma_f32_16x16x32_fp8_fp8 v[196:199], a[126:127], v[142:143], v[196:199]// 00000000E708: D3F300C4 0F131D7E
	s_cmp_ge_u32 s57, s73                                      // 00000000E710: BF094939
	s_cselect_b32 s56, 0, s56                                  // 00000000E714: 85383880
	v_mfma_f32_16x16x32_fp8_fp8 v[200:203], a[96:97], v[144:145], 0// 00000000E718: D3F300C8 0A032160
	v_mfma_f32_16x16x32_fp8_fp8 v[200:203], a[98:99], v[146:147], v[200:203]// 00000000E720: D3F300C8 0F232562
	v_mfma_f32_16x16x32_fp8_fp8 v[200:203], a[100:101], v[148:149], v[200:203]// 00000000E728: D3F300C8 0F232964
	v_mfma_f32_16x16x32_fp8_fp8 v[200:203], a[102:103], v[150:151], v[200:203]// 00000000E730: D3F300C8 0F232D66
	v_mfma_f32_16x16x32_fp8_fp8 v[200:203], a[104:105], v[152:153], v[200:203]// 00000000E738: D3F300C8 0F233168
	v_mfma_f32_16x16x32_fp8_fp8 v[200:203], a[106:107], v[154:155], v[200:203]// 00000000E740: D3F300C8 0F23356A
	v_mfma_f32_16x16x32_fp8_fp8 v[200:203], a[108:109], v[156:157], v[200:203]// 00000000E748: D3F300C8 0F23396C
	v_mfma_f32_16x16x32_fp8_fp8 v[200:203], a[110:111], v[158:159], v[200:203]// 00000000E750: D3F300C8 0F233D6E
	v_mfma_f32_16x16x32_fp8_fp8 v[204:207], a[112:113], v[144:145], 0// 00000000E758: D3F300CC 0A032170
	v_mfma_f32_16x16x32_fp8_fp8 v[204:207], a[114:115], v[146:147], v[204:207]// 00000000E760: D3F300CC 0F332572
	v_mfma_f32_16x16x32_fp8_fp8 v[204:207], a[116:117], v[148:149], v[204:207]// 00000000E768: D3F300CC 0F332974
	v_mfma_f32_16x16x32_fp8_fp8 v[204:207], a[118:119], v[150:151], v[204:207]// 00000000E770: D3F300CC 0F332D76
	v_mfma_f32_16x16x32_fp8_fp8 v[204:207], a[120:121], v[152:153], v[204:207]// 00000000E778: D3F300CC 0F333178
	v_mfma_f32_16x16x32_fp8_fp8 v[204:207], a[122:123], v[154:155], v[204:207]// 00000000E780: D3F300CC 0F33357A
	v_mfma_f32_16x16x32_fp8_fp8 v[204:207], a[124:125], v[156:157], v[204:207]// 00000000E788: D3F300CC 0F33397C
	v_mfma_f32_16x16x32_fp8_fp8 v[204:207], a[126:127], v[158:159], v[204:207]// 00000000E790: D3F300CC 0F333D7E
	v_add_u32_e32 v1, s56, v1                                  // 00000000E798: 68020238
	s_addk_i32 s70, 0x100                                      // 00000000E79C: B7460100
	s_cmp_lt_i32 s70, s71                                      // 00000000E7A0: BF044746
	s_cbranch_scc0 label_28EB                                  // 00000000E7A4: BF84F781
	s_branch label_28EE                                        // 00000000E7A8: BF82F783

000000000000e7ac <label_316B>:
	s_lshr_b32 s60, s71, 4                                     // 00000000E7AC: 8F3C8447
	s_cmp_eq_i32 s60, s73                                      // 00000000E7B0: BF00493C
	s_cbranch_scc1 label_3B26                                  // 00000000E7B4: BF8509B8
	s_lshr_b32 s60, s71, 8                                     // 00000000E7B8: 8F3C8847
	s_and_b32 s60, s60, 1                                      // 00000000E7BC: 863C813C
	s_cmp_eq_i32 s60, 1                                        // 00000000E7C0: BF00813C
	s_cbranch_scc1 label_364C                                  // 00000000E7C4: BF8504DA
	s_waitcnt vmcnt(8) lgkmcnt(0)                              // 00000000E7C8: BF8C0078
	s_barrier                                                  // 00000000E7CC: BF8A0000
	v_mfma_f32_16x16x32_fp8_fp8 v[128:131], a[0:1], v[96:97], 0// 00000000E7D0: D3F30080 0A02C100
	v_mfma_f32_16x16x32_fp8_fp8 v[128:131], a[2:3], v[98:99], v[128:131]// 00000000E7D8: D3F30080 0E02C502
	v_mfma_f32_16x16x32_fp8_fp8 v[128:131], a[4:5], v[100:101], v[128:131]// 00000000E7E0: D3F30080 0E02C904
	v_mfma_f32_16x16x32_fp8_fp8 v[128:131], a[6:7], v[102:103], v[128:131]// 00000000E7E8: D3F30080 0E02CD06
	v_mfma_f32_16x16x32_fp8_fp8 v[132:135], a[8:9], v[96:97], 0// 00000000E7F0: D3F30084 0A02C108
	v_mfma_f32_16x16x32_fp8_fp8 v[132:135], a[10:11], v[98:99], v[132:135]// 00000000E7F8: D3F30084 0E12C50A
	v_mfma_f32_16x16x32_fp8_fp8 v[132:135], a[12:13], v[100:101], v[132:135]// 00000000E800: D3F30084 0E12C90C
	v_mfma_f32_16x16x32_fp8_fp8 v[132:135], a[14:15], v[102:103], v[132:135]// 00000000E808: D3F30084 0E12CD0E
	v_mfma_f32_16x16x32_fp8_fp8 v[136:139], a[16:17], v[96:97], 0// 00000000E810: D3F30088 0A02C110
	v_mfma_f32_16x16x32_fp8_fp8 v[136:139], a[18:19], v[98:99], v[136:139]// 00000000E818: D3F30088 0E22C512
	v_mfma_f32_16x16x32_fp8_fp8 v[136:139], a[20:21], v[100:101], v[136:139]// 00000000E820: D3F30088 0E22C914
	v_mfma_f32_16x16x32_fp8_fp8 v[136:139], a[22:23], v[102:103], v[136:139]// 00000000E828: D3F30088 0E22CD16
	v_mfma_f32_16x16x32_fp8_fp8 v[140:143], a[24:25], v[96:97], 0// 00000000E830: D3F3008C 0A02C118
	v_mfma_f32_16x16x32_fp8_fp8 v[140:143], a[26:27], v[98:99], v[140:143]// 00000000E838: D3F3008C 0E32C51A
	v_mfma_f32_16x16x32_fp8_fp8 v[140:143], a[28:29], v[100:101], v[140:143]// 00000000E840: D3F3008C 0E32C91C
	v_mfma_f32_16x16x32_fp8_fp8 v[140:143], a[30:31], v[102:103], v[140:143]// 00000000E848: D3F3008C 0E32CD1E
	v_mfma_f32_16x16x32_fp8_fp8 v[144:147], a[0:1], v[104:105], 0// 00000000E850: D3F30090 0A02D100
	v_mfma_f32_16x16x32_fp8_fp8 v[144:147], a[2:3], v[106:107], v[144:147]// 00000000E858: D3F30090 0E42D502
	v_mfma_f32_16x16x32_fp8_fp8 v[144:147], a[4:5], v[108:109], v[144:147]// 00000000E860: D3F30090 0E42D904
	v_mfma_f32_16x16x32_fp8_fp8 v[144:147], a[6:7], v[110:111], v[144:147]// 00000000E868: D3F30090 0E42DD06
	v_mfma_f32_16x16x32_fp8_fp8 v[148:151], a[8:9], v[104:105], 0// 00000000E870: D3F30094 0A02D108
	v_mfma_f32_16x16x32_fp8_fp8 v[148:151], a[10:11], v[106:107], v[148:151]// 00000000E878: D3F30094 0E52D50A
	v_mfma_f32_16x16x32_fp8_fp8 v[148:151], a[12:13], v[108:109], v[148:151]// 00000000E880: D3F30094 0E52D90C
	v_mfma_f32_16x16x32_fp8_fp8 v[148:151], a[14:15], v[110:111], v[148:151]// 00000000E888: D3F30094 0E52DD0E
	v_mfma_f32_16x16x32_fp8_fp8 v[152:155], a[16:17], v[104:105], 0// 00000000E890: D3F30098 0A02D110
	v_mfma_f32_16x16x32_fp8_fp8 v[152:155], a[18:19], v[106:107], v[152:155]// 00000000E898: D3F30098 0E62D512
	v_mfma_f32_16x16x32_fp8_fp8 v[152:155], a[20:21], v[108:109], v[152:155]// 00000000E8A0: D3F30098 0E62D914
	v_mfma_f32_16x16x32_fp8_fp8 v[152:155], a[22:23], v[110:111], v[152:155]// 00000000E8A8: D3F30098 0E62DD16
	v_mfma_f32_16x16x32_fp8_fp8 v[156:159], a[24:25], v[104:105], 0// 00000000E8B0: D3F3009C 0A02D118
	v_mfma_f32_16x16x32_fp8_fp8 v[156:159], a[26:27], v[106:107], v[156:159]// 00000000E8B8: D3F3009C 0E72D51A
	v_mfma_f32_16x16x32_fp8_fp8 v[156:159], a[28:29], v[108:109], v[156:159]// 00000000E8C0: D3F3009C 0E72D91C
	v_mfma_f32_16x16x32_fp8_fp8 v[156:159], a[30:31], v[110:111], v[156:159]// 00000000E8C8: D3F3009C 0E72DD1E
	v_mov_b32_dpp v41, v52 row_shr:4 row_mask:0xf bank_mask:0xf// 00000000E8D0: 7E5202FA FF011434
	v_mov_b32_dpp v42, v52 row_shl:4 row_mask:0xf bank_mask:0xf// 00000000E8D8: 7E5402FA FF010434
	v_cndmask_b32_e64 v248, v52, v41, s[44:45]                 // 00000000E8E0: D10000F8 00B25334
	v_cndmask_b32_e64 v249, v42, v52, s[44:45]                 // 00000000E8E8: D10000F9 00B2692A
	v_mov_b32_dpp v41, v248 row_shr:8 row_mask:0xf bank_mask:0xf// 00000000E8F0: 7E5202FA FF0118F8
	v_mov_b32_dpp v42, v248 row_shl:8 row_mask:0xf bank_mask:0xf// 00000000E8F8: 7E5402FA FF0108F8
	v_mov_b32_dpp v43, v249 row_shr:8 row_mask:0xf bank_mask:0xf// 00000000E900: 7E5602FA FF0118F9
	v_mov_b32_dpp v44, v249 row_shl:8 row_mask:0xf bank_mask:0xf// 00000000E908: 7E5802FA FF0108F9
	v_mov_b32_e32 v45, v248                                    // 00000000E910: 7E5A03F8
	v_mov_b32_e32 v46, v249                                    // 00000000E914: 7E5C03F9
	v_cndmask_b32_e64 v248, v45, v41, s[42:43]                 // 00000000E918: D10000F8 00AA532D
	v_cndmask_b32_e64 v250, v45, v42, s[78:79]                 // 00000000E920: D10000FA 013A552D
	v_cndmask_b32_e64 v249, v46, v43, s[42:43]                 // 00000000E928: D10000F9 00AA572E
	v_cndmask_b32_e64 v251, v46, v44, s[78:79]                 // 00000000E930: D10000FB 013A592E
	v_mov_b32_dpp v41, v72 row_shr:4 row_mask:0xf bank_mask:0xf// 00000000E938: 7E5202FA FF011448
	v_mov_b32_dpp v42, v72 row_shl:4 row_mask:0xf bank_mask:0xf// 00000000E940: 7E5402FA FF010448
	v_cndmask_b32_e64 v252, v72, v41, s[44:45]                 // 00000000E948: D10000FC 00B25348
	v_cndmask_b32_e64 v253, v42, v72, s[44:45]                 // 00000000E950: D10000FD 00B2912A
	v_mov_b32_dpp v41, v252 row_shr:8 row_mask:0xf bank_mask:0xf// 00000000E958: 7E5202FA FF0118FC
	v_mov_b32_dpp v42, v252 row_shl:8 row_mask:0xf bank_mask:0xf// 00000000E960: 7E5402FA FF0108FC
	v_mov_b32_dpp v43, v253 row_shr:8 row_mask:0xf bank_mask:0xf// 00000000E968: 7E5602FA FF0118FD
	v_mov_b32_dpp v44, v253 row_shl:8 row_mask:0xf bank_mask:0xf// 00000000E970: 7E5802FA FF0108FD
	v_mov_b32_e32 v45, v252                                    // 00000000E978: 7E5A03FC
	v_mov_b32_e32 v46, v253                                    // 00000000E97C: 7E5C03FD
	v_cndmask_b32_e64 v252, v45, v41, s[42:43]                 // 00000000E980: D10000FC 00AA532D
	v_cndmask_b32_e64 v254, v45, v42, s[78:79]                 // 00000000E988: D10000FE 013A552D
	v_cndmask_b32_e64 v253, v46, v43, s[42:43]                 // 00000000E990: D10000FD 00AA572E
	v_cndmask_b32_e64 v255, v46, v44, s[78:79]                 // 00000000E998: D10000FF 013A592E
	v_mul_f32_e32 v128, v54, v128                              // 00000000E9A0: 0B010136
	v_mul_f32_e32 v129, v54, v129                              // 00000000E9A4: 0B030336
	v_mul_f32_e32 v130, v54, v130                              // 00000000E9A8: 0B050536
	v_mul_f32_e32 v131, v54, v131                              // 00000000E9AC: 0B070736
	v_mul_f32_e32 v132, v54, v132                              // 00000000E9B0: 0B090936
	v_mul_f32_e32 v133, v54, v133                              // 00000000E9B4: 0B0B0B36
	v_mul_f32_e32 v134, v54, v134                              // 00000000E9B8: 0B0D0D36
	v_mul_f32_e32 v135, v54, v135                              // 00000000E9BC: 0B0F0F36
	v_mul_f32_e32 v136, v54, v136                              // 00000000E9C0: 0B111136
	v_mul_f32_e32 v137, v54, v137                              // 00000000E9C4: 0B131336
	v_mul_f32_e32 v138, v54, v138                              // 00000000E9C8: 0B151536
	v_mul_f32_e32 v139, v54, v139                              // 00000000E9CC: 0B171736
	v_mul_f32_e32 v140, v54, v140                              // 00000000E9D0: 0B191936
	v_mul_f32_e32 v141, v54, v141                              // 00000000E9D4: 0B1B1B36
	v_mul_f32_e32 v142, v54, v142                              // 00000000E9D8: 0B1D1D36
	v_mul_f32_e32 v143, v54, v143                              // 00000000E9DC: 0B1F1F36
	v_mul_f32_dpp v128, v248, v128 quad_perm:[0,0,0,0] row_mask:0xf bank_mask:0xf// 00000000E9E0: 0B0100FA FF0000F8
	v_mul_f32_dpp v129, v248, v129 quad_perm:[1,1,1,1] row_mask:0xf bank_mask:0xf// 00000000E9E8: 0B0302FA FF0055F8
	v_mul_f32_dpp v130, v248, v130 quad_perm:[2,2,2,2] row_mask:0xf bank_mask:0xf// 00000000E9F0: 0B0504FA FF00AAF8
	v_mul_f32_dpp v131, v248, v131 quad_perm:[3,3,3,3] row_mask:0xf bank_mask:0xf// 00000000E9F8: 0B0706FA FF00FFF8
	v_mul_f32_dpp v132, v249, v132 quad_perm:[0,0,0,0] row_mask:0xf bank_mask:0xf// 00000000EA00: 0B0908FA FF0000F9
	v_mul_f32_dpp v133, v249, v133 quad_perm:[1,1,1,1] row_mask:0xf bank_mask:0xf// 00000000EA08: 0B0B0AFA FF0055F9
	v_mul_f32_dpp v134, v249, v134 quad_perm:[2,2,2,2] row_mask:0xf bank_mask:0xf// 00000000EA10: 0B0D0CFA FF00AAF9
	v_mul_f32_dpp v135, v249, v135 quad_perm:[3,3,3,3] row_mask:0xf bank_mask:0xf// 00000000EA18: 0B0F0EFA FF00FFF9
	v_mul_f32_dpp v136, v250, v136 quad_perm:[0,0,0,0] row_mask:0xf bank_mask:0xf// 00000000EA20: 0B1110FA FF0000FA
	v_mul_f32_dpp v137, v250, v137 quad_perm:[1,1,1,1] row_mask:0xf bank_mask:0xf// 00000000EA28: 0B1312FA FF0055FA
	v_mul_f32_dpp v138, v250, v138 quad_perm:[2,2,2,2] row_mask:0xf bank_mask:0xf// 00000000EA30: 0B1514FA FF00AAFA
	v_mul_f32_dpp v139, v250, v139 quad_perm:[3,3,3,3] row_mask:0xf bank_mask:0xf// 00000000EA38: 0B1716FA FF00FFFA
	v_mul_f32_dpp v140, v251, v140 quad_perm:[0,0,0,0] row_mask:0xf bank_mask:0xf// 00000000EA40: 0B1918FA FF0000FB
	v_mul_f32_dpp v141, v251, v141 quad_perm:[1,1,1,1] row_mask:0xf bank_mask:0xf// 00000000EA48: 0B1B1AFA FF0055FB
	v_mul_f32_dpp v142, v251, v142 quad_perm:[2,2,2,2] row_mask:0xf bank_mask:0xf// 00000000EA50: 0B1D1CFA FF00AAFB
	v_mul_f32_dpp v143, v251, v143 quad_perm:[3,3,3,3] row_mask:0xf bank_mask:0xf// 00000000EA58: 0B1F1EFA FF00FFFB
	s_and_b32 s60, s72, 0xff                                   // 00000000EA60: 863CFF48 000000FF
	v_mov_b32_e32 v42, s60                                     // 00000000EA68: 7E54023C
	v_lshrrev_b32_e32 v240, 4, v0                              // 00000000EA6C: 21E00084
	v_mul_i32_i24_e32 v240, 4, v240                            // 00000000EA70: 0DE1E084
	s_mul_i32 s60, s7, 16                                      // 00000000EA74: 923C9007
	v_add_u32_e32 v240, s60, v240                              // 00000000EA78: 69E1E03C
	v_add_u32_e32 v241, 1, v240                                // 00000000EA7C: 69E3E081
	v_add_u32_e32 v242, 2, v240                                // 00000000EA80: 69E5E082
	v_add_u32_e32 v243, 3, v240                                // 00000000EA84: 69E7E083
	v_mov_b32_e32 v41, 0xff800000                              // 00000000EA88: 7E5202FF FF800000
	v_cmp_lt_u32_e64 s[40:41], v240, v42                       // 00000000EA90: D0C90028 000255F0
	v_add_u32_e32 v240, 64, v240                               // 00000000EA98: 69E1E0C0
	s_nop 0                                                    // 00000000EA9C: BF800000
	v_cndmask_b32_e64 v128, v41, v128, s[40:41]                // 00000000EAA0: D1000080 00A30129
	v_cmp_lt_u32_e64 s[40:41], v241, v42                       // 00000000EAA8: D0C90028 000255F1
	v_add_u32_e32 v241, 64, v241                               // 00000000EAB0: 69E3E2C0
	s_nop 0                                                    // 00000000EAB4: BF800000
	v_cndmask_b32_e64 v129, v41, v129, s[40:41]                // 00000000EAB8: D1000081 00A30329
	v_cmp_lt_u32_e64 s[40:41], v242, v42                       // 00000000EAC0: D0C90028 000255F2
	v_add_u32_e32 v242, 64, v242                               // 00000000EAC8: 69E5E4C0
	s_nop 0                                                    // 00000000EACC: BF800000
	v_cndmask_b32_e64 v130, v41, v130, s[40:41]                // 00000000EAD0: D1000082 00A30529
	v_cmp_lt_u32_e64 s[40:41], v243, v42                       // 00000000EAD8: D0C90028 000255F3
	v_add_u32_e32 v243, 64, v243                               // 00000000EAE0: 69E7E6C0
	s_nop 0                                                    // 00000000EAE4: BF800000
	v_cndmask_b32_e64 v131, v41, v131, s[40:41]                // 00000000EAE8: D1000083 00A30729
	v_cmp_lt_u32_e64 s[40:41], v240, v42                       // 00000000EAF0: D0C90028 000255F0
	v_add_u32_e32 v240, 64, v240                               // 00000000EAF8: 69E1E0C0
	s_nop 0                                                    // 00000000EAFC: BF800000
	v_cndmask_b32_e64 v132, v41, v132, s[40:41]                // 00000000EB00: D1000084 00A30929
	v_cmp_lt_u32_e64 s[40:41], v241, v42                       // 00000000EB08: D0C90028 000255F1
	v_add_u32_e32 v241, 64, v241                               // 00000000EB10: 69E3E2C0
	s_nop 0                                                    // 00000000EB14: BF800000
	v_cndmask_b32_e64 v133, v41, v133, s[40:41]                // 00000000EB18: D1000085 00A30B29
	v_cmp_lt_u32_e64 s[40:41], v242, v42                       // 00000000EB20: D0C90028 000255F2
	v_add_u32_e32 v242, 64, v242                               // 00000000EB28: 69E5E4C0
	s_nop 0                                                    // 00000000EB2C: BF800000
	v_cndmask_b32_e64 v134, v41, v134, s[40:41]                // 00000000EB30: D1000086 00A30D29
	v_cmp_lt_u32_e64 s[40:41], v243, v42                       // 00000000EB38: D0C90028 000255F3
	v_add_u32_e32 v243, 64, v243                               // 00000000EB40: 69E7E6C0
	s_nop 0                                                    // 00000000EB44: BF800000
	v_cndmask_b32_e64 v135, v41, v135, s[40:41]                // 00000000EB48: D1000087 00A30F29
	v_cmp_lt_u32_e64 s[40:41], v240, v42                       // 00000000EB50: D0C90028 000255F0
	v_add_u32_e32 v240, 64, v240                               // 00000000EB58: 69E1E0C0
	s_nop 0                                                    // 00000000EB5C: BF800000
	v_cndmask_b32_e64 v136, v41, v136, s[40:41]                // 00000000EB60: D1000088 00A31129
	v_cmp_lt_u32_e64 s[40:41], v241, v42                       // 00000000EB68: D0C90028 000255F1
	v_add_u32_e32 v241, 64, v241                               // 00000000EB70: 69E3E2C0
	s_nop 0                                                    // 00000000EB74: BF800000
	v_cndmask_b32_e64 v137, v41, v137, s[40:41]                // 00000000EB78: D1000089 00A31329
	v_cmp_lt_u32_e64 s[40:41], v242, v42                       // 00000000EB80: D0C90028 000255F2
	v_add_u32_e32 v242, 64, v242                               // 00000000EB88: 69E5E4C0
	s_nop 0                                                    // 00000000EB8C: BF800000
	v_cndmask_b32_e64 v138, v41, v138, s[40:41]                // 00000000EB90: D100008A 00A31529
	v_cmp_lt_u32_e64 s[40:41], v243, v42                       // 00000000EB98: D0C90028 000255F3
	v_add_u32_e32 v243, 64, v243                               // 00000000EBA0: 69E7E6C0
	s_nop 0                                                    // 00000000EBA4: BF800000
	v_cndmask_b32_e64 v139, v41, v139, s[40:41]                // 00000000EBA8: D100008B 00A31729
	v_cmp_lt_u32_e64 s[40:41], v240, v42                       // 00000000EBB0: D0C90028 000255F0
	v_add_u32_e32 v240, 64, v240                               // 00000000EBB8: 69E1E0C0
	s_nop 0                                                    // 00000000EBBC: BF800000
	v_cndmask_b32_e64 v140, v41, v140, s[40:41]                // 00000000EBC0: D100008C 00A31929
	v_cmp_lt_u32_e64 s[40:41], v241, v42                       // 00000000EBC8: D0C90028 000255F1
	v_add_u32_e32 v241, 64, v241                               // 00000000EBD0: 69E3E2C0
	s_nop 0                                                    // 00000000EBD4: BF800000
	v_cndmask_b32_e64 v141, v41, v141, s[40:41]                // 00000000EBD8: D100008D 00A31B29
	v_cmp_lt_u32_e64 s[40:41], v242, v42                       // 00000000EBE0: D0C90028 000255F2
	v_add_u32_e32 v242, 64, v242                               // 00000000EBE8: 69E5E4C0
	s_nop 0                                                    // 00000000EBEC: BF800000
	v_cndmask_b32_e64 v142, v41, v142, s[40:41]                // 00000000EBF0: D100008E 00A31D29
	v_cmp_lt_u32_e64 s[40:41], v243, v42                       // 00000000EBF8: D0C90028 000255F3
	v_add_u32_e32 v243, 64, v243                               // 00000000EC00: 69E7E6C0
	s_nop 0                                                    // 00000000EC04: BF800000
	v_cndmask_b32_e64 v143, v41, v143, s[40:41]                // 00000000EC08: D100008F 00A31F29
	v_mov_b32_e32 v62, v128                                    // 00000000EC10: 7E7C0380
	v_max3_f32 v62, v128, v129, v62                            // 00000000EC14: D1D3003E 04FB0380
	v_max3_f32 v62, v130, v131, v62                            // 00000000EC1C: D1D3003E 04FB0782
	v_max3_f32 v62, v132, v133, v62                            // 00000000EC24: D1D3003E 04FB0B84
	v_max3_f32 v62, v134, v135, v62                            // 00000000EC2C: D1D3003E 04FB0F86
	v_max3_f32 v62, v136, v137, v62                            // 00000000EC34: D1D3003E 04FB1388
	v_max3_f32 v62, v138, v139, v62                            // 00000000EC3C: D1D3003E 04FB178A
	v_max3_f32 v62, v140, v141, v62                            // 00000000EC44: D1D3003E 04FB1B8C
	v_max3_f32 v62, v142, v143, v62                            // 00000000EC4C: D1D3003E 04FB1F8E
	ds_write_b32 v11, v62 offset:16896                         // 00000000EC54: D81A4200 00003E0B
	v_mul_u32_u24_dpp v41, v20, v68 row_newbcast:1 row_mask:0xf bank_mask:0xf// 00000000EC5C: 105288FA FF015114
	v_mul_u32_u24_dpp v42, v20, v68 row_newbcast:5 row_mask:0xf bank_mask:0xf// 00000000EC64: 105488FA FF015514
	v_mul_u32_u24_dpp v43, v20, v68 row_newbcast:9 row_mask:0xf bank_mask:0xf// 00000000EC6C: 105688FA FF015914
	v_mul_u32_u24_dpp v44, v20, v68 row_newbcast:13 row_mask:0xf bank_mask:0xf// 00000000EC74: 105888FA FF015D14
	v_add_u32_e32 v37, v41, v7                                 // 00000000EC7C: 684A0F29
	v_add_u32_e32 v38, v42, v7                                 // 00000000EC80: 684C0F2A
	v_add_u32_e32 v39, v43, v7                                 // 00000000EC84: 684E0F2B
	v_add_u32_e32 v40, v44, v7                                 // 00000000EC88: 68500F2C
	v_mul_f32_e32 v224, v63, v224                              // 00000000EC8C: 0BC1C13F
	v_mul_f32_e32 v225, v63, v225                              // 00000000EC90: 0BC3C33F
	v_mul_f32_e32 v226, v63, v226                              // 00000000EC94: 0BC5C53F
	v_mul_f32_e32 v227, v63, v227                              // 00000000EC98: 0BC7C73F
	v_mul_f32_e32 v228, v63, v228                              // 00000000EC9C: 0BC9C93F
	v_mul_f32_e32 v229, v63, v229                              // 00000000ECA0: 0BCBCB3F
	v_mul_f32_e32 v230, v63, v230                              // 00000000ECA4: 0BCDCD3F
	v_mul_f32_e32 v231, v63, v231                              // 00000000ECA8: 0BCFCF3F
	s_waitcnt lgkmcnt(0)                                       // 00000000ECAC: BF8CC07F
	s_barrier                                                  // 00000000ECB0: BF8A0000
	ds_read_b32 v80, v10 offset:16896                          // 00000000ECB4: D86C4200 5000000A
	ds_read_b32 v81, v10 offset:16960                          // 00000000ECBC: D86C4240 5100000A
	ds_read_b32 v82, v10 offset:17024                          // 00000000ECC4: D86C4280 5200000A
	ds_read_b32 v83, v10 offset:17088                          // 00000000ECCC: D86C42C0 5300000A
	ds_read_b32 v84, v10 offset:17152                          // 00000000ECD4: D86C4300 5400000A
	ds_read_b32 v85, v10 offset:17216                          // 00000000ECDC: D86C4340 5500000A
	ds_read_b32 v86, v10 offset:17280                          // 00000000ECE4: D86C4380 5600000A
	ds_read_b32 v87, v10 offset:17344                          // 00000000ECEC: D86C43C0 5700000A
	ds_read_b32 v88, v10 offset:17408                          // 00000000ECF4: D86C4400 5800000A
	ds_read_b32 v89, v10 offset:17472                          // 00000000ECFC: D86C4440 5900000A
	ds_read_b32 v90, v10 offset:17536                          // 00000000ED04: D86C4480 5A00000A
	ds_read_b32 v91, v10 offset:17600                          // 00000000ED0C: D86C44C0 5B00000A
	ds_read_b32 v92, v10 offset:17664                          // 00000000ED14: D86C4500 5C00000A
	ds_read_b32 v93, v10 offset:17728                          // 00000000ED1C: D86C4540 5D00000A
	ds_read_b32 v94, v10 offset:17792                          // 00000000ED24: D86C4580 5E00000A
	ds_read_b32 v95, v10 offset:17856                          // 00000000ED2C: D86C45C0 5F00000A
	v_mul_f32_e32 v192, v58, v192                              // 00000000ED34: 0B81813A
	v_mul_f32_e32 v193, v58, v193                              // 00000000ED38: 0B83833A
	v_mul_f32_e32 v194, v58, v194                              // 00000000ED3C: 0B85853A
	v_mul_f32_e32 v195, v58, v195                              // 00000000ED40: 0B87873A
	v_mul_f32_e32 v196, v58, v196                              // 00000000ED44: 0B89893A
	v_mul_f32_e32 v197, v58, v197                              // 00000000ED48: 0B8B8B3A
	v_mul_f32_e32 v198, v58, v198                              // 00000000ED4C: 0B8D8D3A
	v_mul_f32_e32 v199, v58, v199                              // 00000000ED50: 0B8F8F3A
	s_waitcnt lgkmcnt(0)                                       // 00000000ED54: BF8CC07F
	v_max3_f32 v62, v80, v81, v62                              // 00000000ED58: D1D3003E 04FAA350
	v_max3_f32 v62, v82, v83, v62                              // 00000000ED60: D1D3003E 04FAA752
	v_max3_f32 v62, v84, v85, v62                              // 00000000ED68: D1D3003E 04FAAB54
	v_max3_f32 v62, v86, v87, v62                              // 00000000ED70: D1D3003E 04FAAF56
	v_max3_f32 v62, v88, v89, v62                              // 00000000ED78: D1D3003E 04FAB358
	v_max3_f32 v62, v90, v91, v62                              // 00000000ED80: D1D3003E 04FAB75A
	v_max3_f32 v62, v92, v93, v62                              // 00000000ED88: D1D3003E 04FABB5C
	v_max3_f32 v62, v94, v95, v62                              // 00000000ED90: D1D3003E 04FABF5E
	v_mov_b32_e32 v41, 0xff800000                              // 00000000ED98: 7E5202FF FF800000
	v_cmp_eq_u32_e64 s[40:41], v41, v14                        // 00000000EDA0: D0CA0028 00021D29
	s_nop 1                                                    // 00000000EDA8: BF800001
	v_max_f32_e32 v18, v62, v14                                // 00000000EDAC: 16241D3E
	v_mul_f32_e32 v67, s64, v18                                // 00000000EDB0: 0A862440
	v_fma_f32 v128, v128, s64, -v67                            // 00000000EDB4: D1CB0080 850C8180
	v_fma_f32 v129, v129, s64, -v67                            // 00000000EDBC: D1CB0081 850C8181
	v_fma_f32 v130, v130, s64, -v67                            // 00000000EDC4: D1CB0082 850C8182
	v_fma_f32 v131, v131, s64, -v67                            // 00000000EDCC: D1CB0083 850C8183
	v_fma_f32 v132, v132, s64, -v67                            // 00000000EDD4: D1CB0084 850C8184
	v_fma_f32 v133, v133, s64, -v67                            // 00000000EDDC: D1CB0085 850C8185
	v_fma_f32 v134, v134, s64, -v67                            // 00000000EDE4: D1CB0086 850C8186
	v_fma_f32 v135, v135, s64, -v67                            // 00000000EDEC: D1CB0087 850C8187
	v_fma_f32 v136, v136, s64, -v67                            // 00000000EDF4: D1CB0088 850C8188
	v_fma_f32 v137, v137, s64, -v67                            // 00000000EDFC: D1CB0089 850C8189
	v_fma_f32 v138, v138, s64, -v67                            // 00000000EE04: D1CB008A 850C818A
	v_fma_f32 v139, v139, s64, -v67                            // 00000000EE0C: D1CB008B 850C818B
	v_fma_f32 v140, v140, s64, -v67                            // 00000000EE14: D1CB008C 850C818C
	v_fma_f32 v141, v141, s64, -v67                            // 00000000EE1C: D1CB008D 850C818D
	v_fma_f32 v142, v142, s64, -v67                            // 00000000EE24: D1CB008E 850C818E
	v_fma_f32 v143, v143, s64, -v67                            // 00000000EE2C: D1CB008F 850C818F
	v_exp_f32_e32 v128, v128                                   // 00000000EE34: 7F004180
	v_exp_f32_e32 v129, v129                                   // 00000000EE38: 7F024181
	v_exp_f32_e32 v130, v130                                   // 00000000EE3C: 7F044182
	v_exp_f32_e32 v131, v131                                   // 00000000EE40: 7F064183
	v_exp_f32_e32 v132, v132                                   // 00000000EE44: 7F084184
	v_exp_f32_e32 v133, v133                                   // 00000000EE48: 7F0A4185
	v_exp_f32_e32 v134, v134                                   // 00000000EE4C: 7F0C4186
	v_exp_f32_e32 v135, v135                                   // 00000000EE50: 7F0E4187
	v_exp_f32_e32 v136, v136                                   // 00000000EE54: 7F104188
	v_exp_f32_e32 v137, v137                                   // 00000000EE58: 7F124189
	v_exp_f32_e32 v138, v138                                   // 00000000EE5C: 7F14418A
	v_exp_f32_e32 v139, v139                                   // 00000000EE60: 7F16418B
	v_exp_f32_e32 v140, v140                                   // 00000000EE64: 7F18418C
	v_exp_f32_e32 v141, v141                                   // 00000000EE68: 7F1A418D
	v_exp_f32_e32 v142, v142                                   // 00000000EE6C: 7F1C418E
	v_exp_f32_e32 v143, v143                                   // 00000000EE70: 7F1E418F
	v_mul_f32_dpp v240, v252, v128 quad_perm:[0,0,0,0] row_mask:0xf bank_mask:0xf// 00000000EE74: 0BE100FA FF0000FC
	v_mul_f32_dpp v241, v252, v129 quad_perm:[1,1,1,1] row_mask:0xf bank_mask:0xf// 00000000EE7C: 0BE302FA FF0055FC
	v_mul_f32_dpp v242, v252, v130 quad_perm:[2,2,2,2] row_mask:0xf bank_mask:0xf// 00000000EE84: 0BE504FA FF00AAFC
	v_mul_f32_dpp v243, v252, v131 quad_perm:[3,3,3,3] row_mask:0xf bank_mask:0xf// 00000000EE8C: 0BE706FA FF00FFFC
	v_mul_f32_dpp v244, v253, v132 quad_perm:[0,0,0,0] row_mask:0xf bank_mask:0xf// 00000000EE94: 0BE908FA FF0000FD
	v_mul_f32_dpp v245, v253, v133 quad_perm:[1,1,1,1] row_mask:0xf bank_mask:0xf// 00000000EE9C: 0BEB0AFA FF0055FD
	v_mul_f32_dpp v246, v253, v134 quad_perm:[2,2,2,2] row_mask:0xf bank_mask:0xf// 00000000EEA4: 0BED0CFA FF00AAFD
	v_mul_f32_dpp v247, v253, v135 quad_perm:[3,3,3,3] row_mask:0xf bank_mask:0xf// 00000000EEAC: 0BEF0EFA FF00FFFD
	v_mul_f32_dpp v248, v254, v136 quad_perm:[0,0,0,0] row_mask:0xf bank_mask:0xf// 00000000EEB4: 0BF110FA FF0000FE
	v_mul_f32_dpp v249, v254, v137 quad_perm:[1,1,1,1] row_mask:0xf bank_mask:0xf// 00000000EEBC: 0BF312FA FF0055FE
	v_mul_f32_dpp v250, v254, v138 quad_perm:[2,2,2,2] row_mask:0xf bank_mask:0xf// 00000000EEC4: 0BF514FA FF00AAFE
	v_mul_f32_dpp v251, v254, v139 quad_perm:[3,3,3,3] row_mask:0xf bank_mask:0xf// 00000000EECC: 0BF716FA FF00FFFE
	v_mul_f32_dpp v252, v255, v140 quad_perm:[0,0,0,0] row_mask:0xf bank_mask:0xf// 00000000EED4: 0BF918FA FF0000FF
	v_mul_f32_dpp v253, v255, v141 quad_perm:[1,1,1,1] row_mask:0xf bank_mask:0xf// 00000000EEDC: 0BFB1AFA FF0055FF
	v_mul_f32_dpp v254, v255, v142 quad_perm:[2,2,2,2] row_mask:0xf bank_mask:0xf// 00000000EEE4: 0BFD1CFA FF00AAFF
	v_mul_f32_dpp v255, v255, v143 quad_perm:[3,3,3,3] row_mask:0xf bank_mask:0xf// 00000000EEEC: 0BFF1EFA FF00FFFF
	v_mov_b32_e32 v62, 0x358637bd                              // 00000000EEF4: 7E7C02FF 358637BD
	v_max3_f32 v62, |v240|, |v241|, v62                        // 00000000EEFC: D1D3033E 04FBE3F0
	v_max3_f32 v62, |v242|, |v243|, v62                        // 00000000EF04: D1D3033E 04FBE7F2
	v_max3_f32 v62, |v244|, |v245|, v62                        // 00000000EF0C: D1D3033E 04FBEBF4
	v_max3_f32 v62, |v246|, |v247|, v62                        // 00000000EF14: D1D3033E 04FBEFF6
	v_max3_f32 v62, |v248|, |v249|, v62                        // 00000000EF1C: D1D3033E 04FBF3F8
	v_max3_f32 v62, |v250|, |v251|, v62                        // 00000000EF24: D1D3033E 04FBF7FA
	v_max3_f32 v62, |v252|, |v253|, v62                        // 00000000EF2C: D1D3033E 04FBFBFC
	v_max3_f32 v62, |v254|, |v255|, v62                        // 00000000EF34: D1D3033E 04FBFFFE
	ds_write_b32 v11, v62 offset:20992                         // 00000000EF3C: D81A5200 00003E0B
	v_sub_f32_e32 v63, v14, v18                                // 00000000EF44: 047E250E
	v_cndmask_b32_e64 v63, v63, 0, s[40:41]                    // 00000000EF48: D100003F 00A1013F
	v_mov_b32_e32 v14, v18                                     // 00000000EF50: 7E1C0312
	v_mul_f32_e32 v63, s64, v63                                // 00000000EF54: 0A7E7E40
	v_exp_f32_e32 v63, v63                                     // 00000000EF58: 7E7E413F
	s_waitcnt lgkmcnt(0)                                       // 00000000EF5C: BF8CC07F
	s_barrier                                                  // 00000000EF60: BF8A0000
	ds_read_b32 v80, v10 offset:20992                          // 00000000EF64: D86C5200 5000000A
	ds_read_b32 v81, v10 offset:21056                          // 00000000EF6C: D86C5240 5100000A
	ds_read_b32 v82, v10 offset:21120                          // 00000000EF74: D86C5280 5200000A
	ds_read_b32 v83, v10 offset:21184                          // 00000000EF7C: D86C52C0 5300000A
	ds_read_b32 v84, v10 offset:21248                          // 00000000EF84: D86C5300 5400000A
	ds_read_b32 v85, v10 offset:21312                          // 00000000EF8C: D86C5340 5500000A
	ds_read_b32 v86, v10 offset:21376                          // 00000000EF94: D86C5380 5600000A
	ds_read_b32 v87, v10 offset:21440                          // 00000000EF9C: D86C53C0 5700000A
	ds_read_b32 v88, v10 offset:21504                          // 00000000EFA4: D86C5400 5800000A
	ds_read_b32 v89, v10 offset:21568                          // 00000000EFAC: D86C5440 5900000A
	ds_read_b32 v90, v10 offset:21632                          // 00000000EFB4: D86C5480 5A00000A
	ds_read_b32 v91, v10 offset:21696                          // 00000000EFBC: D86C54C0 5B00000A
	ds_read_b32 v92, v10 offset:21760                          // 00000000EFC4: D86C5500 5C00000A
	ds_read_b32 v93, v10 offset:21824                          // 00000000EFCC: D86C5540 5D00000A
	ds_read_b32 v94, v10 offset:21888                          // 00000000EFD4: D86C5580 5E00000A
	ds_read_b32 v95, v10 offset:21952                          // 00000000EFDC: D86C55C0 5F00000A
	v_mul_f32_e32 v47, v63, v47                                // 00000000EFE4: 0A5E5F3F
	v_mov_b32_e32 v18, v128                                    // 00000000EFE8: 7E240380
	v_add_f32_e32 v18, v129, v18                               // 00000000EFEC: 02242581
	v_add_f32_e32 v18, v130, v18                               // 00000000EFF0: 02242582
	v_add_f32_e32 v18, v131, v18                               // 00000000EFF4: 02242583
	v_add_f32_e32 v18, v132, v18                               // 00000000EFF8: 02242584
	v_add_f32_e32 v18, v133, v18                               // 00000000EFFC: 02242585
	v_add_f32_e32 v18, v134, v18                               // 00000000F000: 02242586
	v_add_f32_e32 v18, v135, v18                               // 00000000F004: 02242587
	v_add_f32_e32 v18, v136, v18                               // 00000000F008: 02242588
	v_add_f32_e32 v18, v137, v18                               // 00000000F00C: 02242589
	v_add_f32_e32 v18, v138, v18                               // 00000000F010: 0224258A
	v_add_f32_e32 v18, v139, v18                               // 00000000F014: 0224258B
	v_add_f32_e32 v18, v140, v18                               // 00000000F018: 0224258C
	v_add_f32_e32 v18, v141, v18                               // 00000000F01C: 0224258D
	v_add_f32_e32 v18, v142, v18                               // 00000000F020: 0224258E
	v_add_f32_e32 v18, v143, v18                               // 00000000F024: 0224258F
	v_add_f32_e32 v47, v18, v47                                // 00000000F028: 025E5F12
	s_waitcnt lgkmcnt(0)                                       // 00000000F02C: BF8CC07F
	v_max3_f32 v62, |v80|, |v81|, v62                          // 00000000F030: D1D3033E 04FAA350
	v_max3_f32 v62, |v82|, |v83|, v62                          // 00000000F038: D1D3033E 04FAA752
	v_max3_f32 v62, |v84|, |v85|, v62                          // 00000000F040: D1D3033E 04FAAB54
	v_max3_f32 v62, |v86|, |v87|, v62                          // 00000000F048: D1D3033E 04FAAF56
	v_max3_f32 v62, |v88|, |v89|, v62                          // 00000000F050: D1D3033E 04FAB358
	v_max3_f32 v62, |v90|, |v91|, v62                          // 00000000F058: D1D3033E 04FAB75A
	v_max3_f32 v62, |v92|, |v93|, v62                          // 00000000F060: D1D3033E 04FABB5C
	v_max3_f32 v62, |v94|, |v95|, v62                          // 00000000F068: D1D3033E 04FABF5E
	s_nop 2                                                    // 00000000F070: BF800002
	v_rcp_f32_e32 v62, v62                                     // 00000000F074: 7E7C453E
	s_nop 1                                                    // 00000000F078: BF800001
	v_mul_f32_e32 v62, 0x43700000, v62                         // 00000000F07C: 0A7C7CFF 43700000
	v_mul_f32_e32 v128, v62, v240                              // 00000000F084: 0B01E13E
	v_mul_f32_e32 v129, v62, v241                              // 00000000F088: 0B03E33E
	v_mul_f32_e32 v130, v62, v242                              // 00000000F08C: 0B05E53E
	v_mul_f32_e32 v131, v62, v243                              // 00000000F090: 0B07E73E
	v_mul_f32_e32 v132, v62, v244                              // 00000000F094: 0B09E93E
	v_mul_f32_e32 v133, v62, v245                              // 00000000F098: 0B0BEB3E
	v_mul_f32_e32 v134, v62, v246                              // 00000000F09C: 0B0DED3E
	v_mul_f32_e32 v135, v62, v247                              // 00000000F0A0: 0B0FEF3E
	v_mul_f32_e32 v136, v62, v248                              // 00000000F0A4: 0B11F13E
	v_mul_f32_e32 v137, v62, v249                              // 00000000F0A8: 0B13F33E
	v_mul_f32_e32 v138, v62, v250                              // 00000000F0AC: 0B15F53E
	v_mul_f32_e32 v139, v62, v251                              // 00000000F0B0: 0B17F73E
	v_mul_f32_e32 v140, v62, v252                              // 00000000F0B4: 0B19F93E
	v_mul_f32_e32 v141, v62, v253                              // 00000000F0B8: 0B1BFB3E
	v_mul_f32_e32 v142, v62, v254                              // 00000000F0BC: 0B1DFD3E
	v_mul_f32_e32 v143, v62, v255                              // 00000000F0C0: 0B1FFF3E
	v_cvt_pk_fp8_f32 v128, v128, v129                          // 00000000F0C4: D2A20080 00030380
	v_cvt_pk_fp8_f32 v128, v130, v131 op_sel:[0,0,1]           // 00000000F0CC: D2A24080 00030782
	v_cvt_pk_fp8_f32 v129, v132, v133                          // 00000000F0D4: D2A20081 00030B84
	v_cvt_pk_fp8_f32 v129, v134, v135 op_sel:[0,0,1]           // 00000000F0DC: D2A24081 00030F86
	v_cvt_pk_fp8_f32 v130, v136, v137                          // 00000000F0E4: D2A20082 00031388
	v_cvt_pk_fp8_f32 v130, v138, v139 op_sel:[0,0,1]           // 00000000F0EC: D2A24082 0003178A
	v_cvt_pk_fp8_f32 v131, v140, v141                          // 00000000F0F4: D2A20083 00031B8C
	v_cvt_pk_fp8_f32 v131, v142, v143 op_sel:[0,0,1]           // 00000000F0FC: D2A24083 00031F8E
	ds_write_b32 v13, v128 offset:25088                        // 00000000F104: D81A6200 0000800D
	ds_write_b32 v13, v129 offset:26112                        // 00000000F10C: D81A6600 0000810D
	ds_write_b32 v13, v130 offset:27136                        // 00000000F114: D81A6A00 0000820D
	ds_write_b32 v13, v131 offset:28160                        // 00000000F11C: D81A6E00 0000830D
	v_add_f32_e32 v224, v224, v192                             // 00000000F124: 03C181E0
	v_add_f32_e32 v225, v225, v193                             // 00000000F128: 03C383E1
	v_add_f32_e32 v226, v226, v194                             // 00000000F12C: 03C585E2
	v_add_f32_e32 v227, v227, v195                             // 00000000F130: 03C787E3
	v_add_f32_e32 v228, v228, v196                             // 00000000F134: 03C989E4
	v_add_f32_e32 v229, v229, v197                             // 00000000F138: 03CB8BE5
	v_add_f32_e32 v230, v230, v198                             // 00000000F13C: 03CD8DE6
	v_add_f32_e32 v231, v231, v199                             // 00000000F140: 03CF8FE7
	v_rcp_f32_e32 v58, v62                                     // 00000000F144: 7E74453E
	s_waitcnt lgkmcnt(0)                                       // 00000000F148: BF8CC07F
	s_barrier                                                  // 00000000F14C: BF8A0000
	ds_read_b64 v[128:129], v12 offset:25088                   // 00000000F150: D8EC6200 8000000C
	ds_read_b64 v[130:131], v12 offset:25216                   // 00000000F158: D8EC6280 8200000C
	ds_read_b64 v[132:133], v12 offset:26112                   // 00000000F160: D8EC6600 8400000C
	ds_read_b64 v[134:135], v12 offset:26240                   // 00000000F168: D8EC6680 8600000C
	ds_read_b64 v[136:137], v12 offset:27136                   // 00000000F170: D8EC6A00 8800000C
	ds_read_b64 v[138:139], v12 offset:27264                   // 00000000F178: D8EC6A80 8A00000C
	ds_read_b64 v[140:141], v12 offset:28160                   // 00000000F180: D8EC6E00 8C00000C
	ds_read_b64 v[142:143], v12 offset:28288                   // 00000000F188: D8EC6E80 8E00000C
	v_mov_b32_dpp v41, v52 row_shr:4 row_mask:0xf bank_mask:0xf// 00000000F190: 7E5202FA FF011434
	v_mov_b32_dpp v42, v52 row_shl:4 row_mask:0xf bank_mask:0xf// 00000000F198: 7E5402FA FF010434
	v_cndmask_b32_e64 v248, v52, v41, s[44:45]                 // 00000000F1A0: D10000F8 00B25334
	v_cndmask_b32_e64 v249, v42, v52, s[44:45]                 // 00000000F1A8: D10000F9 00B2692A
	v_mov_b32_dpp v41, v248 row_shr:8 row_mask:0xf bank_mask:0xf// 00000000F1B0: 7E5202FA FF0118F8
	v_mov_b32_dpp v42, v248 row_shl:8 row_mask:0xf bank_mask:0xf// 00000000F1B8: 7E5402FA FF0108F8
	v_mov_b32_dpp v43, v249 row_shr:8 row_mask:0xf bank_mask:0xf// 00000000F1C0: 7E5602FA FF0118F9
	v_mov_b32_dpp v44, v249 row_shl:8 row_mask:0xf bank_mask:0xf// 00000000F1C8: 7E5802FA FF0108F9
	v_mov_b32_e32 v45, v248                                    // 00000000F1D0: 7E5A03F8
	v_mov_b32_e32 v46, v249                                    // 00000000F1D4: 7E5C03F9
	v_cndmask_b32_e64 v248, v45, v41, s[42:43]                 // 00000000F1D8: D10000F8 00AA532D
	v_cndmask_b32_e64 v250, v45, v42, s[78:79]                 // 00000000F1E0: D10000FA 013A552D
	v_cndmask_b32_e64 v249, v46, v43, s[42:43]                 // 00000000F1E8: D10000F9 00AA572E
	v_cndmask_b32_e64 v251, v46, v44, s[78:79]                 // 00000000F1F0: D10000FB 013A592E
	v_mov_b32_dpp v41, v72 row_shr:4 row_mask:0xf bank_mask:0xf// 00000000F1F8: 7E5202FA FF011448
	v_mov_b32_dpp v42, v72 row_shl:4 row_mask:0xf bank_mask:0xf// 00000000F200: 7E5402FA FF010448
	v_cndmask_b32_e64 v252, v72, v41, s[44:45]                 // 00000000F208: D10000FC 00B25348
	v_cndmask_b32_e64 v253, v42, v72, s[44:45]                 // 00000000F210: D10000FD 00B2912A
	v_mov_b32_dpp v41, v252 row_shr:8 row_mask:0xf bank_mask:0xf// 00000000F218: 7E5202FA FF0118FC
	v_mov_b32_dpp v42, v252 row_shl:8 row_mask:0xf bank_mask:0xf// 00000000F220: 7E5402FA FF0108FC
	v_mov_b32_dpp v43, v253 row_shr:8 row_mask:0xf bank_mask:0xf// 00000000F228: 7E5602FA FF0118FD
	v_mov_b32_dpp v44, v253 row_shl:8 row_mask:0xf bank_mask:0xf// 00000000F230: 7E5802FA FF0108FD
	v_mov_b32_e32 v45, v252                                    // 00000000F238: 7E5A03FC
	v_mov_b32_e32 v46, v253                                    // 00000000F23C: 7E5C03FD
	v_cndmask_b32_e64 v252, v45, v41, s[42:43]                 // 00000000F240: D10000FC 00AA532D
	v_cndmask_b32_e64 v254, v45, v42, s[78:79]                 // 00000000F248: D10000FE 013A552D
	v_cndmask_b32_e64 v253, v46, v43, s[42:43]                 // 00000000F250: D10000FD 00AA572E
	v_cndmask_b32_e64 v255, v46, v44, s[78:79]                 // 00000000F258: D10000FF 013A592E
	v_mul_f32_e32 v144, v55, v144                              // 00000000F260: 0B212137
	v_mul_f32_e32 v145, v55, v145                              // 00000000F264: 0B232337
	v_mul_f32_e32 v146, v55, v146                              // 00000000F268: 0B252537
	v_mul_f32_e32 v147, v55, v147                              // 00000000F26C: 0B272737
	v_mul_f32_e32 v148, v55, v148                              // 00000000F270: 0B292937
	v_mul_f32_e32 v149, v55, v149                              // 00000000F274: 0B2B2B37
	v_mul_f32_e32 v150, v55, v150                              // 00000000F278: 0B2D2D37
	v_mul_f32_e32 v151, v55, v151                              // 00000000F27C: 0B2F2F37
	v_mul_f32_e32 v152, v55, v152                              // 00000000F280: 0B313137
	v_mul_f32_e32 v153, v55, v153                              // 00000000F284: 0B333337
	v_mul_f32_e32 v154, v55, v154                              // 00000000F288: 0B353537
	v_mul_f32_e32 v155, v55, v155                              // 00000000F28C: 0B373737
	v_mul_f32_e32 v156, v55, v156                              // 00000000F290: 0B393937
	v_mul_f32_e32 v157, v55, v157                              // 00000000F294: 0B3B3B37
	v_mul_f32_e32 v158, v55, v158                              // 00000000F298: 0B3D3D37
	v_mul_f32_e32 v159, v55, v159                              // 00000000F29C: 0B3F3F37
	v_mul_f32_dpp v144, v248, v144 quad_perm:[0,0,0,0] row_mask:0xf bank_mask:0xf// 00000000F2A0: 0B2120FA FF0000F8
	v_mul_f32_dpp v145, v248, v145 quad_perm:[1,1,1,1] row_mask:0xf bank_mask:0xf// 00000000F2A8: 0B2322FA FF0055F8
	v_mul_f32_dpp v146, v248, v146 quad_perm:[2,2,2,2] row_mask:0xf bank_mask:0xf// 00000000F2B0: 0B2524FA FF00AAF8
	v_mul_f32_dpp v147, v248, v147 quad_perm:[3,3,3,3] row_mask:0xf bank_mask:0xf// 00000000F2B8: 0B2726FA FF00FFF8
	v_mul_f32_dpp v148, v249, v148 quad_perm:[0,0,0,0] row_mask:0xf bank_mask:0xf// 00000000F2C0: 0B2928FA FF0000F9
	v_mul_f32_dpp v149, v249, v149 quad_perm:[1,1,1,1] row_mask:0xf bank_mask:0xf// 00000000F2C8: 0B2B2AFA FF0055F9
	v_mul_f32_dpp v150, v249, v150 quad_perm:[2,2,2,2] row_mask:0xf bank_mask:0xf// 00000000F2D0: 0B2D2CFA FF00AAF9
	v_mul_f32_dpp v151, v249, v151 quad_perm:[3,3,3,3] row_mask:0xf bank_mask:0xf// 00000000F2D8: 0B2F2EFA FF00FFF9
	v_mul_f32_dpp v152, v250, v152 quad_perm:[0,0,0,0] row_mask:0xf bank_mask:0xf// 00000000F2E0: 0B3130FA FF0000FA
	v_mul_f32_dpp v153, v250, v153 quad_perm:[1,1,1,1] row_mask:0xf bank_mask:0xf// 00000000F2E8: 0B3332FA FF0055FA
	v_mul_f32_dpp v154, v250, v154 quad_perm:[2,2,2,2] row_mask:0xf bank_mask:0xf// 00000000F2F0: 0B3534FA FF00AAFA
	v_mul_f32_dpp v155, v250, v155 quad_perm:[3,3,3,3] row_mask:0xf bank_mask:0xf// 00000000F2F8: 0B3736FA FF00FFFA
	v_mul_f32_dpp v156, v251, v156 quad_perm:[0,0,0,0] row_mask:0xf bank_mask:0xf// 00000000F300: 0B3938FA FF0000FB
	v_mul_f32_dpp v157, v251, v157 quad_perm:[1,1,1,1] row_mask:0xf bank_mask:0xf// 00000000F308: 0B3B3AFA FF0055FB
	v_mul_f32_dpp v158, v251, v158 quad_perm:[2,2,2,2] row_mask:0xf bank_mask:0xf// 00000000F310: 0B3D3CFA FF00AAFB
	v_mul_f32_dpp v159, v251, v159 quad_perm:[3,3,3,3] row_mask:0xf bank_mask:0xf// 00000000F318: 0B3F3EFA FF00FFFB
	s_and_b32 s60, s72, 0xff                                   // 00000000F320: 863CFF48 000000FF
	v_mov_b32_e32 v42, s60                                     // 00000000F328: 7E54023C
	v_lshrrev_b32_e32 v240, 4, v0                              // 00000000F32C: 21E00084
	v_mul_i32_i24_e32 v240, 4, v240                            // 00000000F330: 0DE1E084
	s_mul_i32 s60, s7, 16                                      // 00000000F334: 923C9007
	v_add_u32_e32 v240, s60, v240                              // 00000000F338: 69E1E03C
	v_add_u32_e32 v241, 1, v240                                // 00000000F33C: 69E3E081
	v_add_u32_e32 v242, 2, v240                                // 00000000F340: 69E5E082
	v_add_u32_e32 v243, 3, v240                                // 00000000F344: 69E7E083
	v_mov_b32_e32 v41, 0xff800000                              // 00000000F348: 7E5202FF FF800000
	v_cmp_lt_u32_e64 s[40:41], v240, v42                       // 00000000F350: D0C90028 000255F0
	v_add_u32_e32 v240, 64, v240                               // 00000000F358: 69E1E0C0
	s_nop 0                                                    // 00000000F35C: BF800000
	v_cndmask_b32_e64 v144, v41, v144, s[40:41]                // 00000000F360: D1000090 00A32129
	v_cmp_lt_u32_e64 s[40:41], v241, v42                       // 00000000F368: D0C90028 000255F1
	v_add_u32_e32 v241, 64, v241                               // 00000000F370: 69E3E2C0
	s_nop 0                                                    // 00000000F374: BF800000
	v_cndmask_b32_e64 v145, v41, v145, s[40:41]                // 00000000F378: D1000091 00A32329
	v_cmp_lt_u32_e64 s[40:41], v242, v42                       // 00000000F380: D0C90028 000255F2
	v_add_u32_e32 v242, 64, v242                               // 00000000F388: 69E5E4C0
	s_nop 0                                                    // 00000000F38C: BF800000
	v_cndmask_b32_e64 v146, v41, v146, s[40:41]                // 00000000F390: D1000092 00A32529
	v_cmp_lt_u32_e64 s[40:41], v243, v42                       // 00000000F398: D0C90028 000255F3
	v_add_u32_e32 v243, 64, v243                               // 00000000F3A0: 69E7E6C0
	s_nop 0                                                    // 00000000F3A4: BF800000
	v_cndmask_b32_e64 v147, v41, v147, s[40:41]                // 00000000F3A8: D1000093 00A32729
	v_cmp_lt_u32_e64 s[40:41], v240, v42                       // 00000000F3B0: D0C90028 000255F0
	v_add_u32_e32 v240, 64, v240                               // 00000000F3B8: 69E1E0C0
	s_nop 0                                                    // 00000000F3BC: BF800000
	v_cndmask_b32_e64 v148, v41, v148, s[40:41]                // 00000000F3C0: D1000094 00A32929
	v_cmp_lt_u32_e64 s[40:41], v241, v42                       // 00000000F3C8: D0C90028 000255F1
	v_add_u32_e32 v241, 64, v241                               // 00000000F3D0: 69E3E2C0
	s_nop 0                                                    // 00000000F3D4: BF800000
	v_cndmask_b32_e64 v149, v41, v149, s[40:41]                // 00000000F3D8: D1000095 00A32B29
	v_cmp_lt_u32_e64 s[40:41], v242, v42                       // 00000000F3E0: D0C90028 000255F2
	v_add_u32_e32 v242, 64, v242                               // 00000000F3E8: 69E5E4C0
	s_nop 0                                                    // 00000000F3EC: BF800000
	v_cndmask_b32_e64 v150, v41, v150, s[40:41]                // 00000000F3F0: D1000096 00A32D29
	v_cmp_lt_u32_e64 s[40:41], v243, v42                       // 00000000F3F8: D0C90028 000255F3
	v_add_u32_e32 v243, 64, v243                               // 00000000F400: 69E7E6C0
	s_nop 0                                                    // 00000000F404: BF800000
	v_cndmask_b32_e64 v151, v41, v151, s[40:41]                // 00000000F408: D1000097 00A32F29
	v_cmp_lt_u32_e64 s[40:41], v240, v42                       // 00000000F410: D0C90028 000255F0
	v_add_u32_e32 v240, 64, v240                               // 00000000F418: 69E1E0C0
	s_nop 0                                                    // 00000000F41C: BF800000
	v_cndmask_b32_e64 v152, v41, v152, s[40:41]                // 00000000F420: D1000098 00A33129
	v_cmp_lt_u32_e64 s[40:41], v241, v42                       // 00000000F428: D0C90028 000255F1
	v_add_u32_e32 v241, 64, v241                               // 00000000F430: 69E3E2C0
	s_nop 0                                                    // 00000000F434: BF800000
	v_cndmask_b32_e64 v153, v41, v153, s[40:41]                // 00000000F438: D1000099 00A33329
	v_cmp_lt_u32_e64 s[40:41], v242, v42                       // 00000000F440: D0C90028 000255F2
	v_add_u32_e32 v242, 64, v242                               // 00000000F448: 69E5E4C0
	s_nop 0                                                    // 00000000F44C: BF800000
	v_cndmask_b32_e64 v154, v41, v154, s[40:41]                // 00000000F450: D100009A 00A33529
	v_cmp_lt_u32_e64 s[40:41], v243, v42                       // 00000000F458: D0C90028 000255F3
	v_add_u32_e32 v243, 64, v243                               // 00000000F460: 69E7E6C0
	s_nop 0                                                    // 00000000F464: BF800000
	v_cndmask_b32_e64 v155, v41, v155, s[40:41]                // 00000000F468: D100009B 00A33729
	v_cmp_lt_u32_e64 s[40:41], v240, v42                       // 00000000F470: D0C90028 000255F0
	v_add_u32_e32 v240, 64, v240                               // 00000000F478: 69E1E0C0
	s_nop 0                                                    // 00000000F47C: BF800000
	v_cndmask_b32_e64 v156, v41, v156, s[40:41]                // 00000000F480: D100009C 00A33929
	v_cmp_lt_u32_e64 s[40:41], v241, v42                       // 00000000F488: D0C90028 000255F1
	v_add_u32_e32 v241, 64, v241                               // 00000000F490: 69E3E2C0
	s_nop 0                                                    // 00000000F494: BF800000
	v_cndmask_b32_e64 v157, v41, v157, s[40:41]                // 00000000F498: D100009D 00A33B29
	v_cmp_lt_u32_e64 s[40:41], v242, v42                       // 00000000F4A0: D0C90028 000255F2
	v_add_u32_e32 v242, 64, v242                               // 00000000F4A8: 69E5E4C0
	s_nop 0                                                    // 00000000F4AC: BF800000
	v_cndmask_b32_e64 v158, v41, v158, s[40:41]                // 00000000F4B0: D100009E 00A33D29
	v_cmp_lt_u32_e64 s[40:41], v243, v42                       // 00000000F4B8: D0C90028 000255F3
	v_add_u32_e32 v243, 64, v243                               // 00000000F4C0: 69E7E6C0
	s_nop 0                                                    // 00000000F4C4: BF800000
	v_cndmask_b32_e64 v159, v41, v159, s[40:41]                // 00000000F4C8: D100009F 00A33F29
	v_mov_b32_e32 v62, v144                                    // 00000000F4D0: 7E7C0390
	v_max3_f32 v62, v144, v145, v62                            // 00000000F4D4: D1D3003E 04FB2390
	v_max3_f32 v62, v146, v147, v62                            // 00000000F4DC: D1D3003E 04FB2792
	v_max3_f32 v62, v148, v149, v62                            // 00000000F4E4: D1D3003E 04FB2B94
	v_max3_f32 v62, v150, v151, v62                            // 00000000F4EC: D1D3003E 04FB2F96
	v_max3_f32 v62, v152, v153, v62                            // 00000000F4F4: D1D3003E 04FB3398
	v_max3_f32 v62, v154, v155, v62                            // 00000000F4FC: D1D3003E 04FB379A
	v_max3_f32 v62, v156, v157, v62                            // 00000000F504: D1D3003E 04FB3B9C
	v_max3_f32 v62, v158, v159, v62                            // 00000000F50C: D1D3003E 04FB3F9E
	ds_write_b32 v11, v62 offset:16896                         // 00000000F514: D81A4200 00003E0B
	v_mul_f32_e32 v232, v64, v232                              // 00000000F51C: 0BD1D140
	v_mul_f32_e32 v233, v64, v233                              // 00000000F520: 0BD3D340
	v_mul_f32_e32 v234, v64, v234                              // 00000000F524: 0BD5D540
	v_mul_f32_e32 v235, v64, v235                              // 00000000F528: 0BD7D740
	v_mul_f32_e32 v236, v64, v236                              // 00000000F52C: 0BD9D940
	v_mul_f32_e32 v237, v64, v237                              // 00000000F530: 0BDBDB40
	v_mul_f32_e32 v238, v64, v238                              // 00000000F534: 0BDDDD40
	v_mul_f32_e32 v239, v64, v239                              // 00000000F538: 0BDFDF40
	s_waitcnt lgkmcnt(0)                                       // 00000000F53C: BF8CC07F
	s_barrier                                                  // 00000000F540: BF8A0000
	ds_read_b32 v80, v10 offset:16896                          // 00000000F544: D86C4200 5000000A
	ds_read_b32 v81, v10 offset:16960                          // 00000000F54C: D86C4240 5100000A
	ds_read_b32 v82, v10 offset:17024                          // 00000000F554: D86C4280 5200000A
	ds_read_b32 v83, v10 offset:17088                          // 00000000F55C: D86C42C0 5300000A
	ds_read_b32 v84, v10 offset:17152                          // 00000000F564: D86C4300 5400000A
	ds_read_b32 v85, v10 offset:17216                          // 00000000F56C: D86C4340 5500000A
	ds_read_b32 v86, v10 offset:17280                          // 00000000F574: D86C4380 5600000A
	ds_read_b32 v87, v10 offset:17344                          // 00000000F57C: D86C43C0 5700000A
	ds_read_b32 v88, v10 offset:17408                          // 00000000F584: D86C4400 5800000A
	ds_read_b32 v89, v10 offset:17472                          // 00000000F58C: D86C4440 5900000A
	ds_read_b32 v90, v10 offset:17536                          // 00000000F594: D86C4480 5A00000A
	ds_read_b32 v91, v10 offset:17600                          // 00000000F59C: D86C44C0 5B00000A
	ds_read_b32 v92, v10 offset:17664                          // 00000000F5A4: D86C4500 5C00000A
	ds_read_b32 v93, v10 offset:17728                          // 00000000F5AC: D86C4540 5D00000A
	ds_read_b32 v94, v10 offset:17792                          // 00000000F5B4: D86C4580 5E00000A
	ds_read_b32 v95, v10 offset:17856                          // 00000000F5BC: D86C45C0 5F00000A
	v_mul_f32_e32 v200, v59, v200                              // 00000000F5C4: 0B91913B
	v_mul_f32_e32 v201, v59, v201                              // 00000000F5C8: 0B93933B
	v_mul_f32_e32 v202, v59, v202                              // 00000000F5CC: 0B95953B
	v_mul_f32_e32 v203, v59, v203                              // 00000000F5D0: 0B97973B
	v_mul_f32_e32 v204, v59, v204                              // 00000000F5D4: 0B99993B
	v_mul_f32_e32 v205, v59, v205                              // 00000000F5D8: 0B9B9B3B
	v_mul_f32_e32 v206, v59, v206                              // 00000000F5DC: 0B9D9D3B
	v_mul_f32_e32 v207, v59, v207                              // 00000000F5E0: 0B9F9F3B
	s_waitcnt lgkmcnt(0)                                       // 00000000F5E4: BF8CC07F
	v_max3_f32 v62, v80, v81, v62                              // 00000000F5E8: D1D3003E 04FAA350
	v_max3_f32 v62, v82, v83, v62                              // 00000000F5F0: D1D3003E 04FAA752
	v_max3_f32 v62, v84, v85, v62                              // 00000000F5F8: D1D3003E 04FAAB54
	v_max3_f32 v62, v86, v87, v62                              // 00000000F600: D1D3003E 04FAAF56
	v_max3_f32 v62, v88, v89, v62                              // 00000000F608: D1D3003E 04FAB358
	v_max3_f32 v62, v90, v91, v62                              // 00000000F610: D1D3003E 04FAB75A
	v_max3_f32 v62, v92, v93, v62                              // 00000000F618: D1D3003E 04FABB5C
	v_max3_f32 v62, v94, v95, v62                              // 00000000F620: D1D3003E 04FABF5E
	v_mov_b32_e32 v41, 0xff800000                              // 00000000F628: 7E5202FF FF800000
	v_cmp_eq_u32_e64 s[40:41], v41, v15                        // 00000000F630: D0CA0028 00021F29
	s_nop 1                                                    // 00000000F638: BF800001
	v_max_f32_e32 v18, v62, v15                                // 00000000F63C: 16241F3E
	v_mul_f32_e32 v67, s64, v18                                // 00000000F640: 0A862440
	v_fma_f32 v144, v144, s64, -v67                            // 00000000F644: D1CB0090 850C8190
	v_fma_f32 v145, v145, s64, -v67                            // 00000000F64C: D1CB0091 850C8191
	v_fma_f32 v146, v146, s64, -v67                            // 00000000F654: D1CB0092 850C8192
	v_fma_f32 v147, v147, s64, -v67                            // 00000000F65C: D1CB0093 850C8193
	v_fma_f32 v148, v148, s64, -v67                            // 00000000F664: D1CB0094 850C8194
	v_fma_f32 v149, v149, s64, -v67                            // 00000000F66C: D1CB0095 850C8195
	v_fma_f32 v150, v150, s64, -v67                            // 00000000F674: D1CB0096 850C8196
	v_fma_f32 v151, v151, s64, -v67                            // 00000000F67C: D1CB0097 850C8197
	v_fma_f32 v152, v152, s64, -v67                            // 00000000F684: D1CB0098 850C8198
	v_fma_f32 v153, v153, s64, -v67                            // 00000000F68C: D1CB0099 850C8199
	v_fma_f32 v154, v154, s64, -v67                            // 00000000F694: D1CB009A 850C819A
	v_fma_f32 v155, v155, s64, -v67                            // 00000000F69C: D1CB009B 850C819B
	v_fma_f32 v156, v156, s64, -v67                            // 00000000F6A4: D1CB009C 850C819C
	v_fma_f32 v157, v157, s64, -v67                            // 00000000F6AC: D1CB009D 850C819D
	v_fma_f32 v158, v158, s64, -v67                            // 00000000F6B4: D1CB009E 850C819E
	v_fma_f32 v159, v159, s64, -v67                            // 00000000F6BC: D1CB009F 850C819F
	v_exp_f32_e32 v144, v144                                   // 00000000F6C4: 7F204190
	v_exp_f32_e32 v145, v145                                   // 00000000F6C8: 7F224191
	v_exp_f32_e32 v146, v146                                   // 00000000F6CC: 7F244192
	v_exp_f32_e32 v147, v147                                   // 00000000F6D0: 7F264193
	v_exp_f32_e32 v148, v148                                   // 00000000F6D4: 7F284194
	v_exp_f32_e32 v149, v149                                   // 00000000F6D8: 7F2A4195
	v_exp_f32_e32 v150, v150                                   // 00000000F6DC: 7F2C4196
	v_exp_f32_e32 v151, v151                                   // 00000000F6E0: 7F2E4197
	v_exp_f32_e32 v152, v152                                   // 00000000F6E4: 7F304198
	v_exp_f32_e32 v153, v153                                   // 00000000F6E8: 7F324199
	v_exp_f32_e32 v154, v154                                   // 00000000F6EC: 7F34419A
	v_exp_f32_e32 v155, v155                                   // 00000000F6F0: 7F36419B
	v_exp_f32_e32 v156, v156                                   // 00000000F6F4: 7F38419C
	v_exp_f32_e32 v157, v157                                   // 00000000F6F8: 7F3A419D
	v_exp_f32_e32 v158, v158                                   // 00000000F6FC: 7F3C419E
	v_exp_f32_e32 v159, v159                                   // 00000000F700: 7F3E419F
	v_mul_f32_dpp v240, v252, v144 quad_perm:[0,0,0,0] row_mask:0xf bank_mask:0xf// 00000000F704: 0BE120FA FF0000FC
	v_mul_f32_dpp v241, v252, v145 quad_perm:[1,1,1,1] row_mask:0xf bank_mask:0xf// 00000000F70C: 0BE322FA FF0055FC
	v_mul_f32_dpp v242, v252, v146 quad_perm:[2,2,2,2] row_mask:0xf bank_mask:0xf// 00000000F714: 0BE524FA FF00AAFC
	v_mul_f32_dpp v243, v252, v147 quad_perm:[3,3,3,3] row_mask:0xf bank_mask:0xf// 00000000F71C: 0BE726FA FF00FFFC
	v_mul_f32_dpp v244, v253, v148 quad_perm:[0,0,0,0] row_mask:0xf bank_mask:0xf// 00000000F724: 0BE928FA FF0000FD
	v_mul_f32_dpp v245, v253, v149 quad_perm:[1,1,1,1] row_mask:0xf bank_mask:0xf// 00000000F72C: 0BEB2AFA FF0055FD
	v_mul_f32_dpp v246, v253, v150 quad_perm:[2,2,2,2] row_mask:0xf bank_mask:0xf// 00000000F734: 0BED2CFA FF00AAFD
	v_mul_f32_dpp v247, v253, v151 quad_perm:[3,3,3,3] row_mask:0xf bank_mask:0xf// 00000000F73C: 0BEF2EFA FF00FFFD
	v_mul_f32_dpp v248, v254, v152 quad_perm:[0,0,0,0] row_mask:0xf bank_mask:0xf// 00000000F744: 0BF130FA FF0000FE
	v_mul_f32_dpp v249, v254, v153 quad_perm:[1,1,1,1] row_mask:0xf bank_mask:0xf// 00000000F74C: 0BF332FA FF0055FE
	v_mul_f32_dpp v250, v254, v154 quad_perm:[2,2,2,2] row_mask:0xf bank_mask:0xf// 00000000F754: 0BF534FA FF00AAFE
	v_mul_f32_dpp v251, v254, v155 quad_perm:[3,3,3,3] row_mask:0xf bank_mask:0xf// 00000000F75C: 0BF736FA FF00FFFE
	v_mul_f32_dpp v252, v255, v156 quad_perm:[0,0,0,0] row_mask:0xf bank_mask:0xf// 00000000F764: 0BF938FA FF0000FF
	v_mul_f32_dpp v253, v255, v157 quad_perm:[1,1,1,1] row_mask:0xf bank_mask:0xf// 00000000F76C: 0BFB3AFA FF0055FF
	v_mul_f32_dpp v254, v255, v158 quad_perm:[2,2,2,2] row_mask:0xf bank_mask:0xf// 00000000F774: 0BFD3CFA FF00AAFF
	v_mul_f32_dpp v255, v255, v159 quad_perm:[3,3,3,3] row_mask:0xf bank_mask:0xf// 00000000F77C: 0BFF3EFA FF00FFFF
	v_mov_b32_e32 v62, 0x358637bd                              // 00000000F784: 7E7C02FF 358637BD
	v_max3_f32 v62, |v240|, |v241|, v62                        // 00000000F78C: D1D3033E 04FBE3F0
	v_max3_f32 v62, |v242|, |v243|, v62                        // 00000000F794: D1D3033E 04FBE7F2
	v_max3_f32 v62, |v244|, |v245|, v62                        // 00000000F79C: D1D3033E 04FBEBF4
	v_max3_f32 v62, |v246|, |v247|, v62                        // 00000000F7A4: D1D3033E 04FBEFF6
	v_max3_f32 v62, |v248|, |v249|, v62                        // 00000000F7AC: D1D3033E 04FBF3F8
	v_max3_f32 v62, |v250|, |v251|, v62                        // 00000000F7B4: D1D3033E 04FBF7FA
	v_max3_f32 v62, |v252|, |v253|, v62                        // 00000000F7BC: D1D3033E 04FBFBFC
	v_max3_f32 v62, |v254|, |v255|, v62                        // 00000000F7C4: D1D3033E 04FBFFFE
	ds_write_b32 v11, v62 offset:20992                         // 00000000F7CC: D81A5200 00003E0B
	v_sub_f32_e32 v64, v15, v18                                // 00000000F7D4: 0480250F
	v_cndmask_b32_e64 v64, v64, 0, s[40:41]                    // 00000000F7D8: D1000040 00A10140
	v_mov_b32_e32 v15, v18                                     // 00000000F7E0: 7E1E0312
	v_mul_f32_e32 v64, s64, v64                                // 00000000F7E4: 0A808040
	v_exp_f32_e32 v64, v64                                     // 00000000F7E8: 7E804140
	s_waitcnt lgkmcnt(0)                                       // 00000000F7EC: BF8CC07F
	s_barrier                                                  // 00000000F7F0: BF8A0000
	ds_read_b32 v80, v10 offset:20992                          // 00000000F7F4: D86C5200 5000000A
	ds_read_b32 v81, v10 offset:21056                          // 00000000F7FC: D86C5240 5100000A
	ds_read_b32 v82, v10 offset:21120                          // 00000000F804: D86C5280 5200000A
	ds_read_b32 v83, v10 offset:21184                          // 00000000F80C: D86C52C0 5300000A
	ds_read_b32 v84, v10 offset:21248                          // 00000000F814: D86C5300 5400000A
	ds_read_b32 v85, v10 offset:21312                          // 00000000F81C: D86C5340 5500000A
	ds_read_b32 v86, v10 offset:21376                          // 00000000F824: D86C5380 5600000A
	ds_read_b32 v87, v10 offset:21440                          // 00000000F82C: D86C53C0 5700000A
	ds_read_b32 v88, v10 offset:21504                          // 00000000F834: D86C5400 5800000A
	ds_read_b32 v89, v10 offset:21568                          // 00000000F83C: D86C5440 5900000A
	ds_read_b32 v90, v10 offset:21632                          // 00000000F844: D86C5480 5A00000A
	ds_read_b32 v91, v10 offset:21696                          // 00000000F84C: D86C54C0 5B00000A
	ds_read_b32 v92, v10 offset:21760                          // 00000000F854: D86C5500 5C00000A
	ds_read_b32 v93, v10 offset:21824                          // 00000000F85C: D86C5540 5D00000A
	ds_read_b32 v94, v10 offset:21888                          // 00000000F864: D86C5580 5E00000A
	ds_read_b32 v95, v10 offset:21952                          // 00000000F86C: D86C55C0 5F00000A
	v_mul_f32_e32 v48, v64, v48                                // 00000000F874: 0A606140
	v_mov_b32_e32 v18, v144                                    // 00000000F878: 7E240390
	v_add_f32_e32 v18, v145, v18                               // 00000000F87C: 02242591
	v_add_f32_e32 v18, v146, v18                               // 00000000F880: 02242592
	v_add_f32_e32 v18, v147, v18                               // 00000000F884: 02242593
	v_add_f32_e32 v18, v148, v18                               // 00000000F888: 02242594
	v_add_f32_e32 v18, v149, v18                               // 00000000F88C: 02242595
	v_add_f32_e32 v18, v150, v18                               // 00000000F890: 02242596
	v_add_f32_e32 v18, v151, v18                               // 00000000F894: 02242597
	v_add_f32_e32 v18, v152, v18                               // 00000000F898: 02242598
	v_add_f32_e32 v18, v153, v18                               // 00000000F89C: 02242599
	v_add_f32_e32 v18, v154, v18                               // 00000000F8A0: 0224259A
	v_add_f32_e32 v18, v155, v18                               // 00000000F8A4: 0224259B
	v_add_f32_e32 v18, v156, v18                               // 00000000F8A8: 0224259C
	v_add_f32_e32 v18, v157, v18                               // 00000000F8AC: 0224259D
	v_add_f32_e32 v18, v158, v18                               // 00000000F8B0: 0224259E
	v_add_f32_e32 v18, v159, v18                               // 00000000F8B4: 0224259F
	v_add_f32_e32 v48, v18, v48                                // 00000000F8B8: 02606112
	s_waitcnt lgkmcnt(0)                                       // 00000000F8BC: BF8CC07F
	v_max3_f32 v62, |v80|, |v81|, v62                          // 00000000F8C0: D1D3033E 04FAA350
	v_max3_f32 v62, |v82|, |v83|, v62                          // 00000000F8C8: D1D3033E 04FAA752
	v_max3_f32 v62, |v84|, |v85|, v62                          // 00000000F8D0: D1D3033E 04FAAB54
	v_max3_f32 v62, |v86|, |v87|, v62                          // 00000000F8D8: D1D3033E 04FAAF56
	v_max3_f32 v62, |v88|, |v89|, v62                          // 00000000F8E0: D1D3033E 04FAB358
	v_max3_f32 v62, |v90|, |v91|, v62                          // 00000000F8E8: D1D3033E 04FAB75A
	v_max3_f32 v62, |v92|, |v93|, v62                          // 00000000F8F0: D1D3033E 04FABB5C
	v_max3_f32 v62, |v94|, |v95|, v62                          // 00000000F8F8: D1D3033E 04FABF5E
	s_nop 2                                                    // 00000000F900: BF800002
	v_rcp_f32_e32 v62, v62                                     // 00000000F904: 7E7C453E
	s_nop 1                                                    // 00000000F908: BF800001
	v_mul_f32_e32 v62, 0x43700000, v62                         // 00000000F90C: 0A7C7CFF 43700000
	v_mul_f32_e32 v144, v62, v240                              // 00000000F914: 0B21E13E
	v_mul_f32_e32 v145, v62, v241                              // 00000000F918: 0B23E33E
	v_mul_f32_e32 v146, v62, v242                              // 00000000F91C: 0B25E53E
	v_mul_f32_e32 v147, v62, v243                              // 00000000F920: 0B27E73E
	v_mul_f32_e32 v148, v62, v244                              // 00000000F924: 0B29E93E
	v_mul_f32_e32 v149, v62, v245                              // 00000000F928: 0B2BEB3E
	v_mul_f32_e32 v150, v62, v246                              // 00000000F92C: 0B2DED3E
	v_mul_f32_e32 v151, v62, v247                              // 00000000F930: 0B2FEF3E
	v_mul_f32_e32 v152, v62, v248                              // 00000000F934: 0B31F13E
	v_mul_f32_e32 v153, v62, v249                              // 00000000F938: 0B33F33E
	v_mul_f32_e32 v154, v62, v250                              // 00000000F93C: 0B35F53E
	v_mul_f32_e32 v155, v62, v251                              // 00000000F940: 0B37F73E
	v_mul_f32_e32 v156, v62, v252                              // 00000000F944: 0B39F93E
	v_mul_f32_e32 v157, v62, v253                              // 00000000F948: 0B3BFB3E
	v_mul_f32_e32 v158, v62, v254                              // 00000000F94C: 0B3DFD3E
	v_mul_f32_e32 v159, v62, v255                              // 00000000F950: 0B3FFF3E
	v_cvt_pk_fp8_f32 v144, v144, v145                          // 00000000F954: D2A20090 00032390
	v_cvt_pk_fp8_f32 v144, v146, v147 op_sel:[0,0,1]           // 00000000F95C: D2A24090 00032792
	v_cvt_pk_fp8_f32 v145, v148, v149                          // 00000000F964: D2A20091 00032B94
	v_cvt_pk_fp8_f32 v145, v150, v151 op_sel:[0,0,1]           // 00000000F96C: D2A24091 00032F96
	v_cvt_pk_fp8_f32 v146, v152, v153                          // 00000000F974: D2A20092 00033398
	v_cvt_pk_fp8_f32 v146, v154, v155 op_sel:[0,0,1]           // 00000000F97C: D2A24092 0003379A
	v_cvt_pk_fp8_f32 v147, v156, v157                          // 00000000F984: D2A20093 00033B9C
	v_cvt_pk_fp8_f32 v147, v158, v159 op_sel:[0,0,1]           // 00000000F98C: D2A24093 00033F9E
	ds_write_b32 v13, v144 offset:29184                        // 00000000F994: D81A7200 0000900D
	ds_write_b32 v13, v145 offset:30208                        // 00000000F99C: D81A7600 0000910D
	ds_write_b32 v13, v146 offset:31232                        // 00000000F9A4: D81A7A00 0000920D
	ds_write_b32 v13, v147 offset:32256                        // 00000000F9AC: D81A7E00 0000930D
	v_add_f32_e32 v232, v232, v200                             // 00000000F9B4: 03D191E8
	v_add_f32_e32 v233, v233, v201                             // 00000000F9B8: 03D393E9
	v_add_f32_e32 v234, v234, v202                             // 00000000F9BC: 03D595EA
	v_add_f32_e32 v235, v235, v203                             // 00000000F9C0: 03D797EB
	v_add_f32_e32 v236, v236, v204                             // 00000000F9C4: 03D999EC
	v_add_f32_e32 v237, v237, v205                             // 00000000F9C8: 03DB9BED
	v_add_f32_e32 v238, v238, v206                             // 00000000F9CC: 03DD9DEE
	v_add_f32_e32 v239, v239, v207                             // 00000000F9D0: 03DF9FEF
	v_rcp_f32_e32 v59, v62                                     // 00000000F9D4: 7E76453E
	s_waitcnt lgkmcnt(0)                                       // 00000000F9D8: BF8CC07F
	s_barrier                                                  // 00000000F9DC: BF8A0000
	ds_read_b64 v[144:145], v12 offset:29184                   // 00000000F9E0: D8EC7200 9000000C
	ds_read_b64 v[146:147], v12 offset:29312                   // 00000000F9E8: D8EC7280 9200000C
	ds_read_b64 v[148:149], v12 offset:30208                   // 00000000F9F0: D8EC7600 9400000C
	ds_read_b64 v[150:151], v12 offset:30336                   // 00000000F9F8: D8EC7680 9600000C
	ds_read_b64 v[152:153], v12 offset:31232                   // 00000000FA00: D8EC7A00 9800000C
	ds_read_b64 v[154:155], v12 offset:31360                   // 00000000FA08: D8EC7A80 9A00000C
	ds_read_b64 v[156:157], v12 offset:32256                   // 00000000FA10: D8EC7E00 9C00000C
	ds_read_b64 v[158:159], v12 offset:32384                   // 00000000FA18: D8EC7E80 9E00000C
	s_waitcnt vmcnt(0)                                         // 00000000FA20: BF8C0F70
	s_barrier                                                  // 00000000FA24: BF8A0000
	v_mfma_f32_16x16x32_fp8_fp8 v[192:195], a[64:65], v[128:129], 0// 00000000FA28: D3F300C0 0A030140
	v_mfma_f32_16x16x32_fp8_fp8 v[192:195], a[66:67], v[130:131], v[192:195]// 00000000FA30: D3F300C0 0F030542
	v_mfma_f32_16x16x32_fp8_fp8 v[192:195], a[68:69], v[132:133], v[192:195]// 00000000FA38: D3F300C0 0F030944
	v_mfma_f32_16x16x32_fp8_fp8 v[192:195], a[70:71], v[134:135], v[192:195]// 00000000FA40: D3F300C0 0F030D46
	v_mfma_f32_16x16x32_fp8_fp8 v[192:195], a[72:73], v[136:137], v[192:195]// 00000000FA48: D3F300C0 0F031148
	v_mfma_f32_16x16x32_fp8_fp8 v[192:195], a[74:75], v[138:139], v[192:195]// 00000000FA50: D3F300C0 0F03154A
	v_mfma_f32_16x16x32_fp8_fp8 v[192:195], a[76:77], v[140:141], v[192:195]// 00000000FA58: D3F300C0 0F03194C
	v_mfma_f32_16x16x32_fp8_fp8 v[192:195], a[78:79], v[142:143], v[192:195]// 00000000FA60: D3F300C0 0F031D4E
	v_mfma_f32_16x16x32_fp8_fp8 v[196:199], a[80:81], v[128:129], 0// 00000000FA68: D3F300C4 0A030150
	v_mfma_f32_16x16x32_fp8_fp8 v[196:199], a[82:83], v[130:131], v[196:199]// 00000000FA70: D3F300C4 0F130552
	v_mfma_f32_16x16x32_fp8_fp8 v[196:199], a[84:85], v[132:133], v[196:199]// 00000000FA78: D3F300C4 0F130954
	v_mfma_f32_16x16x32_fp8_fp8 v[196:199], a[86:87], v[134:135], v[196:199]// 00000000FA80: D3F300C4 0F130D56
	v_mfma_f32_16x16x32_fp8_fp8 v[196:199], a[88:89], v[136:137], v[196:199]// 00000000FA88: D3F300C4 0F131158
	v_mfma_f32_16x16x32_fp8_fp8 v[196:199], a[90:91], v[138:139], v[196:199]// 00000000FA90: D3F300C4 0F13155A
	v_mfma_f32_16x16x32_fp8_fp8 v[196:199], a[92:93], v[140:141], v[196:199]// 00000000FA98: D3F300C4 0F13195C
	v_mfma_f32_16x16x32_fp8_fp8 v[196:199], a[94:95], v[142:143], v[196:199]// 00000000FAA0: D3F300C4 0F131D5E
	v_mfma_f32_16x16x32_fp8_fp8 v[200:203], a[64:65], v[144:145], 0// 00000000FAA8: D3F300C8 0A032140
	v_mfma_f32_16x16x32_fp8_fp8 v[200:203], a[66:67], v[146:147], v[200:203]// 00000000FAB0: D3F300C8 0F232542
	v_mfma_f32_16x16x32_fp8_fp8 v[200:203], a[68:69], v[148:149], v[200:203]// 00000000FAB8: D3F300C8 0F232944
	v_mfma_f32_16x16x32_fp8_fp8 v[200:203], a[70:71], v[150:151], v[200:203]// 00000000FAC0: D3F300C8 0F232D46
	v_mfma_f32_16x16x32_fp8_fp8 v[200:203], a[72:73], v[152:153], v[200:203]// 00000000FAC8: D3F300C8 0F233148
	v_mfma_f32_16x16x32_fp8_fp8 v[200:203], a[74:75], v[154:155], v[200:203]// 00000000FAD0: D3F300C8 0F23354A
	v_mfma_f32_16x16x32_fp8_fp8 v[200:203], a[76:77], v[156:157], v[200:203]// 00000000FAD8: D3F300C8 0F23394C
	v_mfma_f32_16x16x32_fp8_fp8 v[200:203], a[78:79], v[158:159], v[200:203]// 00000000FAE0: D3F300C8 0F233D4E
	v_mfma_f32_16x16x32_fp8_fp8 v[204:207], a[80:81], v[144:145], 0// 00000000FAE8: D3F300CC 0A032150
	v_mfma_f32_16x16x32_fp8_fp8 v[204:207], a[82:83], v[146:147], v[204:207]// 00000000FAF0: D3F300CC 0F332552
	v_mfma_f32_16x16x32_fp8_fp8 v[204:207], a[84:85], v[148:149], v[204:207]// 00000000FAF8: D3F300CC 0F332954
	v_mfma_f32_16x16x32_fp8_fp8 v[204:207], a[86:87], v[150:151], v[204:207]// 00000000FB00: D3F300CC 0F332D56
	v_mfma_f32_16x16x32_fp8_fp8 v[204:207], a[88:89], v[152:153], v[204:207]// 00000000FB08: D3F300CC 0F333158
	v_mfma_f32_16x16x32_fp8_fp8 v[204:207], a[90:91], v[154:155], v[204:207]// 00000000FB10: D3F300CC 0F33355A
	v_mfma_f32_16x16x32_fp8_fp8 v[204:207], a[92:93], v[156:157], v[204:207]// 00000000FB18: D3F300CC 0F33395C
	v_mfma_f32_16x16x32_fp8_fp8 v[204:207], a[94:95], v[158:159], v[204:207]// 00000000FB20: D3F300CC 0F333D5E
	s_nop 4                                                    // 00000000FB28: BF800004
	s_branch label_3B26                                        // 00000000FB2C: BF8204DA

000000000000fb30 <label_364C>:
	s_waitcnt vmcnt(8) lgkmcnt(0)                              // 00000000FB30: BF8C0078
	s_barrier                                                  // 00000000FB34: BF8A0000
	v_mfma_f32_16x16x32_fp8_fp8 v[128:131], a[32:33], v[96:97], 0// 00000000FB38: D3F30080 0A02C120
	v_mfma_f32_16x16x32_fp8_fp8 v[128:131], a[34:35], v[98:99], v[128:131]// 00000000FB40: D3F30080 0E02C522
	v_mfma_f32_16x16x32_fp8_fp8 v[128:131], a[36:37], v[100:101], v[128:131]// 00000000FB48: D3F30080 0E02C924
	v_mfma_f32_16x16x32_fp8_fp8 v[128:131], a[38:39], v[102:103], v[128:131]// 00000000FB50: D3F30080 0E02CD26
	v_mfma_f32_16x16x32_fp8_fp8 v[132:135], a[40:41], v[96:97], 0// 00000000FB58: D3F30084 0A02C128
	v_mfma_f32_16x16x32_fp8_fp8 v[132:135], a[42:43], v[98:99], v[132:135]// 00000000FB60: D3F30084 0E12C52A
	v_mfma_f32_16x16x32_fp8_fp8 v[132:135], a[44:45], v[100:101], v[132:135]// 00000000FB68: D3F30084 0E12C92C
	v_mfma_f32_16x16x32_fp8_fp8 v[132:135], a[46:47], v[102:103], v[132:135]// 00000000FB70: D3F30084 0E12CD2E
	v_mfma_f32_16x16x32_fp8_fp8 v[136:139], a[48:49], v[96:97], 0// 00000000FB78: D3F30088 0A02C130
	v_mfma_f32_16x16x32_fp8_fp8 v[136:139], a[50:51], v[98:99], v[136:139]// 00000000FB80: D3F30088 0E22C532
	v_mfma_f32_16x16x32_fp8_fp8 v[136:139], a[52:53], v[100:101], v[136:139]// 00000000FB88: D3F30088 0E22C934
	v_mfma_f32_16x16x32_fp8_fp8 v[136:139], a[54:55], v[102:103], v[136:139]// 00000000FB90: D3F30088 0E22CD36
	v_mfma_f32_16x16x32_fp8_fp8 v[140:143], a[56:57], v[96:97], 0// 00000000FB98: D3F3008C 0A02C138
	v_mfma_f32_16x16x32_fp8_fp8 v[140:143], a[58:59], v[98:99], v[140:143]// 00000000FBA0: D3F3008C 0E32C53A
	v_mfma_f32_16x16x32_fp8_fp8 v[140:143], a[60:61], v[100:101], v[140:143]// 00000000FBA8: D3F3008C 0E32C93C
	v_mfma_f32_16x16x32_fp8_fp8 v[140:143], a[62:63], v[102:103], v[140:143]// 00000000FBB0: D3F3008C 0E32CD3E
	v_mfma_f32_16x16x32_fp8_fp8 v[144:147], a[32:33], v[104:105], 0// 00000000FBB8: D3F30090 0A02D120
	v_mfma_f32_16x16x32_fp8_fp8 v[144:147], a[34:35], v[106:107], v[144:147]// 00000000FBC0: D3F30090 0E42D522
	v_mfma_f32_16x16x32_fp8_fp8 v[144:147], a[36:37], v[108:109], v[144:147]// 00000000FBC8: D3F30090 0E42D924
	v_mfma_f32_16x16x32_fp8_fp8 v[144:147], a[38:39], v[110:111], v[144:147]// 00000000FBD0: D3F30090 0E42DD26
	v_mfma_f32_16x16x32_fp8_fp8 v[148:151], a[40:41], v[104:105], 0// 00000000FBD8: D3F30094 0A02D128
	v_mfma_f32_16x16x32_fp8_fp8 v[148:151], a[42:43], v[106:107], v[148:151]// 00000000FBE0: D3F30094 0E52D52A
	v_mfma_f32_16x16x32_fp8_fp8 v[148:151], a[44:45], v[108:109], v[148:151]// 00000000FBE8: D3F30094 0E52D92C
	v_mfma_f32_16x16x32_fp8_fp8 v[148:151], a[46:47], v[110:111], v[148:151]// 00000000FBF0: D3F30094 0E52DD2E
	v_mfma_f32_16x16x32_fp8_fp8 v[152:155], a[48:49], v[104:105], 0// 00000000FBF8: D3F30098 0A02D130
	v_mfma_f32_16x16x32_fp8_fp8 v[152:155], a[50:51], v[106:107], v[152:155]// 00000000FC00: D3F30098 0E62D532
	v_mfma_f32_16x16x32_fp8_fp8 v[152:155], a[52:53], v[108:109], v[152:155]// 00000000FC08: D3F30098 0E62D934
	v_mfma_f32_16x16x32_fp8_fp8 v[152:155], a[54:55], v[110:111], v[152:155]// 00000000FC10: D3F30098 0E62DD36
	v_mfma_f32_16x16x32_fp8_fp8 v[156:159], a[56:57], v[104:105], 0// 00000000FC18: D3F3009C 0A02D138
	v_mfma_f32_16x16x32_fp8_fp8 v[156:159], a[58:59], v[106:107], v[156:159]// 00000000FC20: D3F3009C 0E72D53A
	v_mfma_f32_16x16x32_fp8_fp8 v[156:159], a[60:61], v[108:109], v[156:159]// 00000000FC28: D3F3009C 0E72D93C
	v_mfma_f32_16x16x32_fp8_fp8 v[156:159], a[62:63], v[110:111], v[156:159]// 00000000FC30: D3F3009C 0E72DD3E
	v_mov_b32_dpp v41, v53 row_shr:4 row_mask:0xf bank_mask:0xf// 00000000FC38: 7E5202FA FF011435
	v_mov_b32_dpp v42, v53 row_shl:4 row_mask:0xf bank_mask:0xf// 00000000FC40: 7E5402FA FF010435
	v_cndmask_b32_e64 v248, v53, v41, s[44:45]                 // 00000000FC48: D10000F8 00B25335
	v_cndmask_b32_e64 v249, v42, v53, s[44:45]                 // 00000000FC50: D10000F9 00B26B2A
	v_mov_b32_dpp v41, v248 row_shr:8 row_mask:0xf bank_mask:0xf// 00000000FC58: 7E5202FA FF0118F8
	v_mov_b32_dpp v42, v248 row_shl:8 row_mask:0xf bank_mask:0xf// 00000000FC60: 7E5402FA FF0108F8
	v_mov_b32_dpp v43, v249 row_shr:8 row_mask:0xf bank_mask:0xf// 00000000FC68: 7E5602FA FF0118F9
	v_mov_b32_dpp v44, v249 row_shl:8 row_mask:0xf bank_mask:0xf// 00000000FC70: 7E5802FA FF0108F9
	v_mov_b32_e32 v45, v248                                    // 00000000FC78: 7E5A03F8
	v_mov_b32_e32 v46, v249                                    // 00000000FC7C: 7E5C03F9
	v_cndmask_b32_e64 v248, v45, v41, s[42:43]                 // 00000000FC80: D10000F8 00AA532D
	v_cndmask_b32_e64 v250, v45, v42, s[78:79]                 // 00000000FC88: D10000FA 013A552D
	v_cndmask_b32_e64 v249, v46, v43, s[42:43]                 // 00000000FC90: D10000F9 00AA572E
	v_cndmask_b32_e64 v251, v46, v44, s[78:79]                 // 00000000FC98: D10000FB 013A592E
	v_mov_b32_dpp v41, v73 row_shr:4 row_mask:0xf bank_mask:0xf// 00000000FCA0: 7E5202FA FF011449
	v_mov_b32_dpp v42, v73 row_shl:4 row_mask:0xf bank_mask:0xf// 00000000FCA8: 7E5402FA FF010449
	v_cndmask_b32_e64 v252, v73, v41, s[44:45]                 // 00000000FCB0: D10000FC 00B25349
	v_cndmask_b32_e64 v253, v42, v73, s[44:45]                 // 00000000FCB8: D10000FD 00B2932A
	v_mov_b32_dpp v41, v252 row_shr:8 row_mask:0xf bank_mask:0xf// 00000000FCC0: 7E5202FA FF0118FC
	v_mov_b32_dpp v42, v252 row_shl:8 row_mask:0xf bank_mask:0xf// 00000000FCC8: 7E5402FA FF0108FC
	v_mov_b32_dpp v43, v253 row_shr:8 row_mask:0xf bank_mask:0xf// 00000000FCD0: 7E5602FA FF0118FD
	v_mov_b32_dpp v44, v253 row_shl:8 row_mask:0xf bank_mask:0xf// 00000000FCD8: 7E5802FA FF0108FD
	v_mov_b32_e32 v45, v252                                    // 00000000FCE0: 7E5A03FC
	v_mov_b32_e32 v46, v253                                    // 00000000FCE4: 7E5C03FD
	v_cndmask_b32_e64 v252, v45, v41, s[42:43]                 // 00000000FCE8: D10000FC 00AA532D
	v_cndmask_b32_e64 v254, v45, v42, s[78:79]                 // 00000000FCF0: D10000FE 013A552D
	v_cndmask_b32_e64 v253, v46, v43, s[42:43]                 // 00000000FCF8: D10000FD 00AA572E
	v_cndmask_b32_e64 v255, v46, v44, s[78:79]                 // 00000000FD00: D10000FF 013A592E
	v_mul_f32_e32 v128, v54, v128                              // 00000000FD08: 0B010136
	v_mul_f32_e32 v129, v54, v129                              // 00000000FD0C: 0B030336
	v_mul_f32_e32 v130, v54, v130                              // 00000000FD10: 0B050536
	v_mul_f32_e32 v131, v54, v131                              // 00000000FD14: 0B070736
	v_mul_f32_e32 v132, v54, v132                              // 00000000FD18: 0B090936
	v_mul_f32_e32 v133, v54, v133                              // 00000000FD1C: 0B0B0B36
	v_mul_f32_e32 v134, v54, v134                              // 00000000FD20: 0B0D0D36
	v_mul_f32_e32 v135, v54, v135                              // 00000000FD24: 0B0F0F36
	v_mul_f32_e32 v136, v54, v136                              // 00000000FD28: 0B111136
	v_mul_f32_e32 v137, v54, v137                              // 00000000FD2C: 0B131336
	v_mul_f32_e32 v138, v54, v138                              // 00000000FD30: 0B151536
	v_mul_f32_e32 v139, v54, v139                              // 00000000FD34: 0B171736
	v_mul_f32_e32 v140, v54, v140                              // 00000000FD38: 0B191936
	v_mul_f32_e32 v141, v54, v141                              // 00000000FD3C: 0B1B1B36
	v_mul_f32_e32 v142, v54, v142                              // 00000000FD40: 0B1D1D36
	v_mul_f32_e32 v143, v54, v143                              // 00000000FD44: 0B1F1F36
	v_mul_f32_dpp v128, v248, v128 quad_perm:[0,0,0,0] row_mask:0xf bank_mask:0xf// 00000000FD48: 0B0100FA FF0000F8
	v_mul_f32_dpp v129, v248, v129 quad_perm:[1,1,1,1] row_mask:0xf bank_mask:0xf// 00000000FD50: 0B0302FA FF0055F8
	v_mul_f32_dpp v130, v248, v130 quad_perm:[2,2,2,2] row_mask:0xf bank_mask:0xf// 00000000FD58: 0B0504FA FF00AAF8
	v_mul_f32_dpp v131, v248, v131 quad_perm:[3,3,3,3] row_mask:0xf bank_mask:0xf// 00000000FD60: 0B0706FA FF00FFF8
	v_mul_f32_dpp v132, v249, v132 quad_perm:[0,0,0,0] row_mask:0xf bank_mask:0xf// 00000000FD68: 0B0908FA FF0000F9
	v_mul_f32_dpp v133, v249, v133 quad_perm:[1,1,1,1] row_mask:0xf bank_mask:0xf// 00000000FD70: 0B0B0AFA FF0055F9
	v_mul_f32_dpp v134, v249, v134 quad_perm:[2,2,2,2] row_mask:0xf bank_mask:0xf// 00000000FD78: 0B0D0CFA FF00AAF9
	v_mul_f32_dpp v135, v249, v135 quad_perm:[3,3,3,3] row_mask:0xf bank_mask:0xf// 00000000FD80: 0B0F0EFA FF00FFF9
	v_mul_f32_dpp v136, v250, v136 quad_perm:[0,0,0,0] row_mask:0xf bank_mask:0xf// 00000000FD88: 0B1110FA FF0000FA
	v_mul_f32_dpp v137, v250, v137 quad_perm:[1,1,1,1] row_mask:0xf bank_mask:0xf// 00000000FD90: 0B1312FA FF0055FA
	v_mul_f32_dpp v138, v250, v138 quad_perm:[2,2,2,2] row_mask:0xf bank_mask:0xf// 00000000FD98: 0B1514FA FF00AAFA
	v_mul_f32_dpp v139, v250, v139 quad_perm:[3,3,3,3] row_mask:0xf bank_mask:0xf// 00000000FDA0: 0B1716FA FF00FFFA
	v_mul_f32_dpp v140, v251, v140 quad_perm:[0,0,0,0] row_mask:0xf bank_mask:0xf// 00000000FDA8: 0B1918FA FF0000FB
	v_mul_f32_dpp v141, v251, v141 quad_perm:[1,1,1,1] row_mask:0xf bank_mask:0xf// 00000000FDB0: 0B1B1AFA FF0055FB
	v_mul_f32_dpp v142, v251, v142 quad_perm:[2,2,2,2] row_mask:0xf bank_mask:0xf// 00000000FDB8: 0B1D1CFA FF00AAFB
	v_mul_f32_dpp v143, v251, v143 quad_perm:[3,3,3,3] row_mask:0xf bank_mask:0xf// 00000000FDC0: 0B1F1EFA FF00FFFB
	s_and_b32 s60, s72, 0xff                                   // 00000000FDC8: 863CFF48 000000FF
	v_mov_b32_e32 v42, s60                                     // 00000000FDD0: 7E54023C
	v_lshrrev_b32_e32 v240, 4, v0                              // 00000000FDD4: 21E00084
	v_mul_i32_i24_e32 v240, 4, v240                            // 00000000FDD8: 0DE1E084
	s_mul_i32 s60, s7, 16                                      // 00000000FDDC: 923C9007
	v_add_u32_e32 v240, s60, v240                              // 00000000FDE0: 69E1E03C
	v_add_u32_e32 v241, 1, v240                                // 00000000FDE4: 69E3E081
	v_add_u32_e32 v242, 2, v240                                // 00000000FDE8: 69E5E082
	v_add_u32_e32 v243, 3, v240                                // 00000000FDEC: 69E7E083
	v_mov_b32_e32 v41, 0xff800000                              // 00000000FDF0: 7E5202FF FF800000
	v_cmp_lt_u32_e64 s[40:41], v240, v42                       // 00000000FDF8: D0C90028 000255F0
	v_add_u32_e32 v240, 64, v240                               // 00000000FE00: 69E1E0C0
	s_nop 0                                                    // 00000000FE04: BF800000
	v_cndmask_b32_e64 v128, v41, v128, s[40:41]                // 00000000FE08: D1000080 00A30129
	v_cmp_lt_u32_e64 s[40:41], v241, v42                       // 00000000FE10: D0C90028 000255F1
	v_add_u32_e32 v241, 64, v241                               // 00000000FE18: 69E3E2C0
	s_nop 0                                                    // 00000000FE1C: BF800000
	v_cndmask_b32_e64 v129, v41, v129, s[40:41]                // 00000000FE20: D1000081 00A30329
	v_cmp_lt_u32_e64 s[40:41], v242, v42                       // 00000000FE28: D0C90028 000255F2
	v_add_u32_e32 v242, 64, v242                               // 00000000FE30: 69E5E4C0
	s_nop 0                                                    // 00000000FE34: BF800000
	v_cndmask_b32_e64 v130, v41, v130, s[40:41]                // 00000000FE38: D1000082 00A30529
	v_cmp_lt_u32_e64 s[40:41], v243, v42                       // 00000000FE40: D0C90028 000255F3
	v_add_u32_e32 v243, 64, v243                               // 00000000FE48: 69E7E6C0
	s_nop 0                                                    // 00000000FE4C: BF800000
	v_cndmask_b32_e64 v131, v41, v131, s[40:41]                // 00000000FE50: D1000083 00A30729
	v_cmp_lt_u32_e64 s[40:41], v240, v42                       // 00000000FE58: D0C90028 000255F0
	v_add_u32_e32 v240, 64, v240                               // 00000000FE60: 69E1E0C0
	s_nop 0                                                    // 00000000FE64: BF800000
	v_cndmask_b32_e64 v132, v41, v132, s[40:41]                // 00000000FE68: D1000084 00A30929
	v_cmp_lt_u32_e64 s[40:41], v241, v42                       // 00000000FE70: D0C90028 000255F1
	v_add_u32_e32 v241, 64, v241                               // 00000000FE78: 69E3E2C0
	s_nop 0                                                    // 00000000FE7C: BF800000
	v_cndmask_b32_e64 v133, v41, v133, s[40:41]                // 00000000FE80: D1000085 00A30B29
	v_cmp_lt_u32_e64 s[40:41], v242, v42                       // 00000000FE88: D0C90028 000255F2
	v_add_u32_e32 v242, 64, v242                               // 00000000FE90: 69E5E4C0
	s_nop 0                                                    // 00000000FE94: BF800000
	v_cndmask_b32_e64 v134, v41, v134, s[40:41]                // 00000000FE98: D1000086 00A30D29
	v_cmp_lt_u32_e64 s[40:41], v243, v42                       // 00000000FEA0: D0C90028 000255F3
	v_add_u32_e32 v243, 64, v243                               // 00000000FEA8: 69E7E6C0
	s_nop 0                                                    // 00000000FEAC: BF800000
	v_cndmask_b32_e64 v135, v41, v135, s[40:41]                // 00000000FEB0: D1000087 00A30F29
	v_cmp_lt_u32_e64 s[40:41], v240, v42                       // 00000000FEB8: D0C90028 000255F0
	v_add_u32_e32 v240, 64, v240                               // 00000000FEC0: 69E1E0C0
	s_nop 0                                                    // 00000000FEC4: BF800000
	v_cndmask_b32_e64 v136, v41, v136, s[40:41]                // 00000000FEC8: D1000088 00A31129
	v_cmp_lt_u32_e64 s[40:41], v241, v42                       // 00000000FED0: D0C90028 000255F1
	v_add_u32_e32 v241, 64, v241                               // 00000000FED8: 69E3E2C0
	s_nop 0                                                    // 00000000FEDC: BF800000
	v_cndmask_b32_e64 v137, v41, v137, s[40:41]                // 00000000FEE0: D1000089 00A31329
	v_cmp_lt_u32_e64 s[40:41], v242, v42                       // 00000000FEE8: D0C90028 000255F2
	v_add_u32_e32 v242, 64, v242                               // 00000000FEF0: 69E5E4C0
	s_nop 0                                                    // 00000000FEF4: BF800000
	v_cndmask_b32_e64 v138, v41, v138, s[40:41]                // 00000000FEF8: D100008A 00A31529
	v_cmp_lt_u32_e64 s[40:41], v243, v42                       // 00000000FF00: D0C90028 000255F3
	v_add_u32_e32 v243, 64, v243                               // 00000000FF08: 69E7E6C0
	s_nop 0                                                    // 00000000FF0C: BF800000
	v_cndmask_b32_e64 v139, v41, v139, s[40:41]                // 00000000FF10: D100008B 00A31729
	v_cmp_lt_u32_e64 s[40:41], v240, v42                       // 00000000FF18: D0C90028 000255F0
	v_add_u32_e32 v240, 64, v240                               // 00000000FF20: 69E1E0C0
	s_nop 0                                                    // 00000000FF24: BF800000
	v_cndmask_b32_e64 v140, v41, v140, s[40:41]                // 00000000FF28: D100008C 00A31929
	v_cmp_lt_u32_e64 s[40:41], v241, v42                       // 00000000FF30: D0C90028 000255F1
	v_add_u32_e32 v241, 64, v241                               // 00000000FF38: 69E3E2C0
	s_nop 0                                                    // 00000000FF3C: BF800000
	v_cndmask_b32_e64 v141, v41, v141, s[40:41]                // 00000000FF40: D100008D 00A31B29
	v_cmp_lt_u32_e64 s[40:41], v242, v42                       // 00000000FF48: D0C90028 000255F2
	v_add_u32_e32 v242, 64, v242                               // 00000000FF50: 69E5E4C0
	s_nop 0                                                    // 00000000FF54: BF800000
	v_cndmask_b32_e64 v142, v41, v142, s[40:41]                // 00000000FF58: D100008E 00A31D29
	v_cmp_lt_u32_e64 s[40:41], v243, v42                       // 00000000FF60: D0C90028 000255F3
	v_add_u32_e32 v243, 64, v243                               // 00000000FF68: 69E7E6C0
	s_nop 0                                                    // 00000000FF6C: BF800000
	v_cndmask_b32_e64 v143, v41, v143, s[40:41]                // 00000000FF70: D100008F 00A31F29
	v_mov_b32_e32 v62, v128                                    // 00000000FF78: 7E7C0380
	v_max3_f32 v62, v128, v129, v62                            // 00000000FF7C: D1D3003E 04FB0380
	v_max3_f32 v62, v130, v131, v62                            // 00000000FF84: D1D3003E 04FB0782
	v_max3_f32 v62, v132, v133, v62                            // 00000000FF8C: D1D3003E 04FB0B84
	v_max3_f32 v62, v134, v135, v62                            // 00000000FF94: D1D3003E 04FB0F86
	v_max3_f32 v62, v136, v137, v62                            // 00000000FF9C: D1D3003E 04FB1388
	v_max3_f32 v62, v138, v139, v62                            // 00000000FFA4: D1D3003E 04FB178A
	v_max3_f32 v62, v140, v141, v62                            // 00000000FFAC: D1D3003E 04FB1B8C
	v_max3_f32 v62, v142, v143, v62                            // 00000000FFB4: D1D3003E 04FB1F8E
	ds_write_b32 v11, v62 offset:16896                         // 00000000FFBC: D81A4200 00003E0B
	v_mul_u32_u24_dpp v41, v19, v68 row_newbcast:1 row_mask:0xf bank_mask:0xf// 00000000FFC4: 105288FA FF015113
	v_mul_u32_u24_dpp v42, v19, v68 row_newbcast:5 row_mask:0xf bank_mask:0xf// 00000000FFCC: 105488FA FF015513
	v_mul_u32_u24_dpp v43, v19, v68 row_newbcast:9 row_mask:0xf bank_mask:0xf// 00000000FFD4: 105688FA FF015913
	v_mul_u32_u24_dpp v44, v19, v68 row_newbcast:13 row_mask:0xf bank_mask:0xf// 00000000FFDC: 105888FA FF015D13
	v_add_u32_e32 v33, v41, v7                                 // 00000000FFE4: 68420F29
	v_add_u32_e32 v34, v42, v7                                 // 00000000FFE8: 68440F2A
	v_add_u32_e32 v35, v43, v7                                 // 00000000FFEC: 68460F2B
	v_add_u32_e32 v36, v44, v7                                 // 00000000FFF0: 68480F2C
	v_mul_f32_e32 v224, v63, v224                              // 00000000FFF4: 0BC1C13F
	v_mul_f32_e32 v225, v63, v225                              // 00000000FFF8: 0BC3C33F
	v_mul_f32_e32 v226, v63, v226                              // 00000000FFFC: 0BC5C53F
	v_mul_f32_e32 v227, v63, v227                              // 000000010000: 0BC7C73F
	v_mul_f32_e32 v228, v63, v228                              // 000000010004: 0BC9C93F
	v_mul_f32_e32 v229, v63, v229                              // 000000010008: 0BCBCB3F
	v_mul_f32_e32 v230, v63, v230                              // 00000001000C: 0BCDCD3F
	v_mul_f32_e32 v231, v63, v231                              // 000000010010: 0BCFCF3F
	s_waitcnt lgkmcnt(0)                                       // 000000010014: BF8CC07F
	s_barrier                                                  // 000000010018: BF8A0000
	ds_read_b32 v80, v10 offset:16896                          // 00000001001C: D86C4200 5000000A
	ds_read_b32 v81, v10 offset:16960                          // 000000010024: D86C4240 5100000A
	ds_read_b32 v82, v10 offset:17024                          // 00000001002C: D86C4280 5200000A
	ds_read_b32 v83, v10 offset:17088                          // 000000010034: D86C42C0 5300000A
	ds_read_b32 v84, v10 offset:17152                          // 00000001003C: D86C4300 5400000A
	ds_read_b32 v85, v10 offset:17216                          // 000000010044: D86C4340 5500000A
	ds_read_b32 v86, v10 offset:17280                          // 00000001004C: D86C4380 5600000A
	ds_read_b32 v87, v10 offset:17344                          // 000000010054: D86C43C0 5700000A
	ds_read_b32 v88, v10 offset:17408                          // 00000001005C: D86C4400 5800000A
	ds_read_b32 v89, v10 offset:17472                          // 000000010064: D86C4440 5900000A
	ds_read_b32 v90, v10 offset:17536                          // 00000001006C: D86C4480 5A00000A
	ds_read_b32 v91, v10 offset:17600                          // 000000010074: D86C44C0 5B00000A
	ds_read_b32 v92, v10 offset:17664                          // 00000001007C: D86C4500 5C00000A
	ds_read_b32 v93, v10 offset:17728                          // 000000010084: D86C4540 5D00000A
	ds_read_b32 v94, v10 offset:17792                          // 00000001008C: D86C4580 5E00000A
	ds_read_b32 v95, v10 offset:17856                          // 000000010094: D86C45C0 5F00000A
	v_mul_f32_e32 v192, v58, v192                              // 00000001009C: 0B81813A
	v_mul_f32_e32 v193, v58, v193                              // 0000000100A0: 0B83833A
	v_mul_f32_e32 v194, v58, v194                              // 0000000100A4: 0B85853A
	v_mul_f32_e32 v195, v58, v195                              // 0000000100A8: 0B87873A
	v_mul_f32_e32 v196, v58, v196                              // 0000000100AC: 0B89893A
	v_mul_f32_e32 v197, v58, v197                              // 0000000100B0: 0B8B8B3A
	v_mul_f32_e32 v198, v58, v198                              // 0000000100B4: 0B8D8D3A
	v_mul_f32_e32 v199, v58, v199                              // 0000000100B8: 0B8F8F3A
	s_waitcnt lgkmcnt(0)                                       // 0000000100BC: BF8CC07F
	v_max3_f32 v62, v80, v81, v62                              // 0000000100C0: D1D3003E 04FAA350
	v_max3_f32 v62, v82, v83, v62                              // 0000000100C8: D1D3003E 04FAA752
	v_max3_f32 v62, v84, v85, v62                              // 0000000100D0: D1D3003E 04FAAB54
	v_max3_f32 v62, v86, v87, v62                              // 0000000100D8: D1D3003E 04FAAF56
	v_max3_f32 v62, v88, v89, v62                              // 0000000100E0: D1D3003E 04FAB358
	v_max3_f32 v62, v90, v91, v62                              // 0000000100E8: D1D3003E 04FAB75A
	v_max3_f32 v62, v92, v93, v62                              // 0000000100F0: D1D3003E 04FABB5C
	v_max3_f32 v62, v94, v95, v62                              // 0000000100F8: D1D3003E 04FABF5E
	v_mov_b32_e32 v41, 0xff800000                              // 000000010100: 7E5202FF FF800000
	v_cmp_eq_u32_e64 s[40:41], v41, v14                        // 000000010108: D0CA0028 00021D29
	s_nop 1                                                    // 000000010110: BF800001
	v_max_f32_e32 v18, v62, v14                                // 000000010114: 16241D3E
	v_mul_f32_e32 v67, s64, v18                                // 000000010118: 0A862440
	v_fma_f32 v128, v128, s64, -v67                            // 00000001011C: D1CB0080 850C8180
	v_fma_f32 v129, v129, s64, -v67                            // 000000010124: D1CB0081 850C8181
	v_fma_f32 v130, v130, s64, -v67                            // 00000001012C: D1CB0082 850C8182
	v_fma_f32 v131, v131, s64, -v67                            // 000000010134: D1CB0083 850C8183
	v_fma_f32 v132, v132, s64, -v67                            // 00000001013C: D1CB0084 850C8184
	v_fma_f32 v133, v133, s64, -v67                            // 000000010144: D1CB0085 850C8185
	v_fma_f32 v134, v134, s64, -v67                            // 00000001014C: D1CB0086 850C8186
	v_fma_f32 v135, v135, s64, -v67                            // 000000010154: D1CB0087 850C8187
	v_fma_f32 v136, v136, s64, -v67                            // 00000001015C: D1CB0088 850C8188
	v_fma_f32 v137, v137, s64, -v67                            // 000000010164: D1CB0089 850C8189
	v_fma_f32 v138, v138, s64, -v67                            // 00000001016C: D1CB008A 850C818A
	v_fma_f32 v139, v139, s64, -v67                            // 000000010174: D1CB008B 850C818B
	v_fma_f32 v140, v140, s64, -v67                            // 00000001017C: D1CB008C 850C818C
	v_fma_f32 v141, v141, s64, -v67                            // 000000010184: D1CB008D 850C818D
	v_fma_f32 v142, v142, s64, -v67                            // 00000001018C: D1CB008E 850C818E
	v_fma_f32 v143, v143, s64, -v67                            // 000000010194: D1CB008F 850C818F
	v_exp_f32_e32 v128, v128                                   // 00000001019C: 7F004180
	v_exp_f32_e32 v129, v129                                   // 0000000101A0: 7F024181
	v_exp_f32_e32 v130, v130                                   // 0000000101A4: 7F044182
	v_exp_f32_e32 v131, v131                                   // 0000000101A8: 7F064183
	v_exp_f32_e32 v132, v132                                   // 0000000101AC: 7F084184
	v_exp_f32_e32 v133, v133                                   // 0000000101B0: 7F0A4185
	v_exp_f32_e32 v134, v134                                   // 0000000101B4: 7F0C4186
	v_exp_f32_e32 v135, v135                                   // 0000000101B8: 7F0E4187
	v_exp_f32_e32 v136, v136                                   // 0000000101BC: 7F104188
	v_exp_f32_e32 v137, v137                                   // 0000000101C0: 7F124189
	v_exp_f32_e32 v138, v138                                   // 0000000101C4: 7F14418A
	v_exp_f32_e32 v139, v139                                   // 0000000101C8: 7F16418B
	v_exp_f32_e32 v140, v140                                   // 0000000101CC: 7F18418C
	v_exp_f32_e32 v141, v141                                   // 0000000101D0: 7F1A418D
	v_exp_f32_e32 v142, v142                                   // 0000000101D4: 7F1C418E
	v_exp_f32_e32 v143, v143                                   // 0000000101D8: 7F1E418F
	v_mul_f32_dpp v240, v252, v128 quad_perm:[0,0,0,0] row_mask:0xf bank_mask:0xf// 0000000101DC: 0BE100FA FF0000FC
	v_mul_f32_dpp v241, v252, v129 quad_perm:[1,1,1,1] row_mask:0xf bank_mask:0xf// 0000000101E4: 0BE302FA FF0055FC
	v_mul_f32_dpp v242, v252, v130 quad_perm:[2,2,2,2] row_mask:0xf bank_mask:0xf// 0000000101EC: 0BE504FA FF00AAFC
	v_mul_f32_dpp v243, v252, v131 quad_perm:[3,3,3,3] row_mask:0xf bank_mask:0xf// 0000000101F4: 0BE706FA FF00FFFC
	v_mul_f32_dpp v244, v253, v132 quad_perm:[0,0,0,0] row_mask:0xf bank_mask:0xf// 0000000101FC: 0BE908FA FF0000FD
	v_mul_f32_dpp v245, v253, v133 quad_perm:[1,1,1,1] row_mask:0xf bank_mask:0xf// 000000010204: 0BEB0AFA FF0055FD
	v_mul_f32_dpp v246, v253, v134 quad_perm:[2,2,2,2] row_mask:0xf bank_mask:0xf// 00000001020C: 0BED0CFA FF00AAFD
	v_mul_f32_dpp v247, v253, v135 quad_perm:[3,3,3,3] row_mask:0xf bank_mask:0xf// 000000010214: 0BEF0EFA FF00FFFD
	v_mul_f32_dpp v248, v254, v136 quad_perm:[0,0,0,0] row_mask:0xf bank_mask:0xf// 00000001021C: 0BF110FA FF0000FE
	v_mul_f32_dpp v249, v254, v137 quad_perm:[1,1,1,1] row_mask:0xf bank_mask:0xf// 000000010224: 0BF312FA FF0055FE
	v_mul_f32_dpp v250, v254, v138 quad_perm:[2,2,2,2] row_mask:0xf bank_mask:0xf// 00000001022C: 0BF514FA FF00AAFE
	v_mul_f32_dpp v251, v254, v139 quad_perm:[3,3,3,3] row_mask:0xf bank_mask:0xf// 000000010234: 0BF716FA FF00FFFE
	v_mul_f32_dpp v252, v255, v140 quad_perm:[0,0,0,0] row_mask:0xf bank_mask:0xf// 00000001023C: 0BF918FA FF0000FF
	v_mul_f32_dpp v253, v255, v141 quad_perm:[1,1,1,1] row_mask:0xf bank_mask:0xf// 000000010244: 0BFB1AFA FF0055FF
	v_mul_f32_dpp v254, v255, v142 quad_perm:[2,2,2,2] row_mask:0xf bank_mask:0xf// 00000001024C: 0BFD1CFA FF00AAFF
	v_mul_f32_dpp v255, v255, v143 quad_perm:[3,3,3,3] row_mask:0xf bank_mask:0xf// 000000010254: 0BFF1EFA FF00FFFF
	v_mov_b32_e32 v62, 0x358637bd                              // 00000001025C: 7E7C02FF 358637BD
	v_max3_f32 v62, |v240|, |v241|, v62                        // 000000010264: D1D3033E 04FBE3F0
	v_max3_f32 v62, |v242|, |v243|, v62                        // 00000001026C: D1D3033E 04FBE7F2
	v_max3_f32 v62, |v244|, |v245|, v62                        // 000000010274: D1D3033E 04FBEBF4
	v_max3_f32 v62, |v246|, |v247|, v62                        // 00000001027C: D1D3033E 04FBEFF6
	v_max3_f32 v62, |v248|, |v249|, v62                        // 000000010284: D1D3033E 04FBF3F8
	v_max3_f32 v62, |v250|, |v251|, v62                        // 00000001028C: D1D3033E 04FBF7FA
	v_max3_f32 v62, |v252|, |v253|, v62                        // 000000010294: D1D3033E 04FBFBFC
	v_max3_f32 v62, |v254|, |v255|, v62                        // 00000001029C: D1D3033E 04FBFFFE
	ds_write_b32 v11, v62 offset:20992                         // 0000000102A4: D81A5200 00003E0B
	v_sub_f32_e32 v63, v14, v18                                // 0000000102AC: 047E250E
	v_cndmask_b32_e64 v63, v63, 0, s[40:41]                    // 0000000102B0: D100003F 00A1013F
	v_mov_b32_e32 v14, v18                                     // 0000000102B8: 7E1C0312
	v_mul_f32_e32 v63, s64, v63                                // 0000000102BC: 0A7E7E40
	v_exp_f32_e32 v63, v63                                     // 0000000102C0: 7E7E413F
	s_waitcnt lgkmcnt(0)                                       // 0000000102C4: BF8CC07F
	s_barrier                                                  // 0000000102C8: BF8A0000
	ds_read_b32 v80, v10 offset:20992                          // 0000000102CC: D86C5200 5000000A
	ds_read_b32 v81, v10 offset:21056                          // 0000000102D4: D86C5240 5100000A
	ds_read_b32 v82, v10 offset:21120                          // 0000000102DC: D86C5280 5200000A
	ds_read_b32 v83, v10 offset:21184                          // 0000000102E4: D86C52C0 5300000A
	ds_read_b32 v84, v10 offset:21248                          // 0000000102EC: D86C5300 5400000A
	ds_read_b32 v85, v10 offset:21312                          // 0000000102F4: D86C5340 5500000A
	ds_read_b32 v86, v10 offset:21376                          // 0000000102FC: D86C5380 5600000A
	ds_read_b32 v87, v10 offset:21440                          // 000000010304: D86C53C0 5700000A
	ds_read_b32 v88, v10 offset:21504                          // 00000001030C: D86C5400 5800000A
	ds_read_b32 v89, v10 offset:21568                          // 000000010314: D86C5440 5900000A
	ds_read_b32 v90, v10 offset:21632                          // 00000001031C: D86C5480 5A00000A
	ds_read_b32 v91, v10 offset:21696                          // 000000010324: D86C54C0 5B00000A
	ds_read_b32 v92, v10 offset:21760                          // 00000001032C: D86C5500 5C00000A
	ds_read_b32 v93, v10 offset:21824                          // 000000010334: D86C5540 5D00000A
	ds_read_b32 v94, v10 offset:21888                          // 00000001033C: D86C5580 5E00000A
	ds_read_b32 v95, v10 offset:21952                          // 000000010344: D86C55C0 5F00000A
	v_mul_f32_e32 v47, v63, v47                                // 00000001034C: 0A5E5F3F
	v_mov_b32_e32 v18, v128                                    // 000000010350: 7E240380
	v_add_f32_e32 v18, v129, v18                               // 000000010354: 02242581
	v_add_f32_e32 v18, v130, v18                               // 000000010358: 02242582
	v_add_f32_e32 v18, v131, v18                               // 00000001035C: 02242583
	v_add_f32_e32 v18, v132, v18                               // 000000010360: 02242584
	v_add_f32_e32 v18, v133, v18                               // 000000010364: 02242585
	;; [unrolled: 1-line block ×3, first 2 shown]
	v_add_f32_e32 v18, v135, v18                               // 00000001036C: 02242587
	v_add_f32_e32 v18, v136, v18                               // 000000010370: 02242588
	v_add_f32_e32 v18, v137, v18                               // 000000010374: 02242589
	v_add_f32_e32 v18, v138, v18                               // 000000010378: 0224258A
	v_add_f32_e32 v18, v139, v18                               // 00000001037C: 0224258B
	v_add_f32_e32 v18, v140, v18                               // 000000010380: 0224258C
	v_add_f32_e32 v18, v141, v18                               // 000000010384: 0224258D
	v_add_f32_e32 v18, v142, v18                               // 000000010388: 0224258E
	v_add_f32_e32 v18, v143, v18                               // 00000001038C: 0224258F
	v_add_f32_e32 v47, v18, v47                                // 000000010390: 025E5F12
	s_waitcnt lgkmcnt(0)                                       // 000000010394: BF8CC07F
	v_max3_f32 v62, |v80|, |v81|, v62                          // 000000010398: D1D3033E 04FAA350
	v_max3_f32 v62, |v82|, |v83|, v62                          // 0000000103A0: D1D3033E 04FAA752
	v_max3_f32 v62, |v84|, |v85|, v62                          // 0000000103A8: D1D3033E 04FAAB54
	v_max3_f32 v62, |v86|, |v87|, v62                          // 0000000103B0: D1D3033E 04FAAF56
	v_max3_f32 v62, |v88|, |v89|, v62                          // 0000000103B8: D1D3033E 04FAB358
	v_max3_f32 v62, |v90|, |v91|, v62                          // 0000000103C0: D1D3033E 04FAB75A
	v_max3_f32 v62, |v92|, |v93|, v62                          // 0000000103C8: D1D3033E 04FABB5C
	v_max3_f32 v62, |v94|, |v95|, v62                          // 0000000103D0: D1D3033E 04FABF5E
	s_nop 2                                                    // 0000000103D8: BF800002
	v_rcp_f32_e32 v62, v62                                     // 0000000103DC: 7E7C453E
	s_nop 1                                                    // 0000000103E0: BF800001
	v_mul_f32_e32 v62, 0x43700000, v62                         // 0000000103E4: 0A7C7CFF 43700000
	v_mul_f32_e32 v128, v62, v240                              // 0000000103EC: 0B01E13E
	v_mul_f32_e32 v129, v62, v241                              // 0000000103F0: 0B03E33E
	v_mul_f32_e32 v130, v62, v242                              // 0000000103F4: 0B05E53E
	v_mul_f32_e32 v131, v62, v243                              // 0000000103F8: 0B07E73E
	v_mul_f32_e32 v132, v62, v244                              // 0000000103FC: 0B09E93E
	v_mul_f32_e32 v133, v62, v245                              // 000000010400: 0B0BEB3E
	v_mul_f32_e32 v134, v62, v246                              // 000000010404: 0B0DED3E
	v_mul_f32_e32 v135, v62, v247                              // 000000010408: 0B0FEF3E
	v_mul_f32_e32 v136, v62, v248                              // 00000001040C: 0B11F13E
	v_mul_f32_e32 v137, v62, v249                              // 000000010410: 0B13F33E
	v_mul_f32_e32 v138, v62, v250                              // 000000010414: 0B15F53E
	v_mul_f32_e32 v139, v62, v251                              // 000000010418: 0B17F73E
	v_mul_f32_e32 v140, v62, v252                              // 00000001041C: 0B19F93E
	v_mul_f32_e32 v141, v62, v253                              // 000000010420: 0B1BFB3E
	v_mul_f32_e32 v142, v62, v254                              // 000000010424: 0B1DFD3E
	v_mul_f32_e32 v143, v62, v255                              // 000000010428: 0B1FFF3E
	v_cvt_pk_fp8_f32 v128, v128, v129                          // 00000001042C: D2A20080 00030380
	v_cvt_pk_fp8_f32 v128, v130, v131 op_sel:[0,0,1]           // 000000010434: D2A24080 00030782
	v_cvt_pk_fp8_f32 v129, v132, v133                          // 00000001043C: D2A20081 00030B84
	v_cvt_pk_fp8_f32 v129, v134, v135 op_sel:[0,0,1]           // 000000010444: D2A24081 00030F86
	v_cvt_pk_fp8_f32 v130, v136, v137                          // 00000001044C: D2A20082 00031388
	v_cvt_pk_fp8_f32 v130, v138, v139 op_sel:[0,0,1]           // 000000010454: D2A24082 0003178A
	v_cvt_pk_fp8_f32 v131, v140, v141                          // 00000001045C: D2A20083 00031B8C
	v_cvt_pk_fp8_f32 v131, v142, v143 op_sel:[0,0,1]           // 000000010464: D2A24083 00031F8E
	ds_write_b32 v13, v128 offset:25088                        // 00000001046C: D81A6200 0000800D
	ds_write_b32 v13, v129 offset:26112                        // 000000010474: D81A6600 0000810D
	ds_write_b32 v13, v130 offset:27136                        // 00000001047C: D81A6A00 0000820D
	ds_write_b32 v13, v131 offset:28160                        // 000000010484: D81A6E00 0000830D
	v_add_f32_e32 v224, v224, v192                             // 00000001048C: 03C181E0
	v_add_f32_e32 v225, v225, v193                             // 000000010490: 03C383E1
	v_add_f32_e32 v226, v226, v194                             // 000000010494: 03C585E2
	v_add_f32_e32 v227, v227, v195                             // 000000010498: 03C787E3
	v_add_f32_e32 v228, v228, v196                             // 00000001049C: 03C989E4
	v_add_f32_e32 v229, v229, v197                             // 0000000104A0: 03CB8BE5
	v_add_f32_e32 v230, v230, v198                             // 0000000104A4: 03CD8DE6
	v_add_f32_e32 v231, v231, v199                             // 0000000104A8: 03CF8FE7
	v_rcp_f32_e32 v58, v62                                     // 0000000104AC: 7E74453E
	s_waitcnt lgkmcnt(0)                                       // 0000000104B0: BF8CC07F
	s_barrier                                                  // 0000000104B4: BF8A0000
	ds_read_b64 v[128:129], v12 offset:25088                   // 0000000104B8: D8EC6200 8000000C
	ds_read_b64 v[130:131], v12 offset:25216                   // 0000000104C0: D8EC6280 8200000C
	ds_read_b64 v[132:133], v12 offset:26112                   // 0000000104C8: D8EC6600 8400000C
	ds_read_b64 v[134:135], v12 offset:26240                   // 0000000104D0: D8EC6680 8600000C
	ds_read_b64 v[136:137], v12 offset:27136                   // 0000000104D8: D8EC6A00 8800000C
	ds_read_b64 v[138:139], v12 offset:27264                   // 0000000104E0: D8EC6A80 8A00000C
	ds_read_b64 v[140:141], v12 offset:28160                   // 0000000104E8: D8EC6E00 8C00000C
	ds_read_b64 v[142:143], v12 offset:28288                   // 0000000104F0: D8EC6E80 8E00000C
	v_mov_b32_dpp v41, v53 row_shr:4 row_mask:0xf bank_mask:0xf// 0000000104F8: 7E5202FA FF011435
	v_mov_b32_dpp v42, v53 row_shl:4 row_mask:0xf bank_mask:0xf// 000000010500: 7E5402FA FF010435
	v_cndmask_b32_e64 v248, v53, v41, s[44:45]                 // 000000010508: D10000F8 00B25335
	v_cndmask_b32_e64 v249, v42, v53, s[44:45]                 // 000000010510: D10000F9 00B26B2A
	v_mov_b32_dpp v41, v248 row_shr:8 row_mask:0xf bank_mask:0xf// 000000010518: 7E5202FA FF0118F8
	v_mov_b32_dpp v42, v248 row_shl:8 row_mask:0xf bank_mask:0xf// 000000010520: 7E5402FA FF0108F8
	v_mov_b32_dpp v43, v249 row_shr:8 row_mask:0xf bank_mask:0xf// 000000010528: 7E5602FA FF0118F9
	v_mov_b32_dpp v44, v249 row_shl:8 row_mask:0xf bank_mask:0xf// 000000010530: 7E5802FA FF0108F9
	v_mov_b32_e32 v45, v248                                    // 000000010538: 7E5A03F8
	v_mov_b32_e32 v46, v249                                    // 00000001053C: 7E5C03F9
	v_cndmask_b32_e64 v248, v45, v41, s[42:43]                 // 000000010540: D10000F8 00AA532D
	v_cndmask_b32_e64 v250, v45, v42, s[78:79]                 // 000000010548: D10000FA 013A552D
	v_cndmask_b32_e64 v249, v46, v43, s[42:43]                 // 000000010550: D10000F9 00AA572E
	v_cndmask_b32_e64 v251, v46, v44, s[78:79]                 // 000000010558: D10000FB 013A592E
	v_mov_b32_dpp v41, v73 row_shr:4 row_mask:0xf bank_mask:0xf// 000000010560: 7E5202FA FF011449
	v_mov_b32_dpp v42, v73 row_shl:4 row_mask:0xf bank_mask:0xf// 000000010568: 7E5402FA FF010449
	v_cndmask_b32_e64 v252, v73, v41, s[44:45]                 // 000000010570: D10000FC 00B25349
	v_cndmask_b32_e64 v253, v42, v73, s[44:45]                 // 000000010578: D10000FD 00B2932A
	v_mov_b32_dpp v41, v252 row_shr:8 row_mask:0xf bank_mask:0xf// 000000010580: 7E5202FA FF0118FC
	v_mov_b32_dpp v42, v252 row_shl:8 row_mask:0xf bank_mask:0xf// 000000010588: 7E5402FA FF0108FC
	v_mov_b32_dpp v43, v253 row_shr:8 row_mask:0xf bank_mask:0xf// 000000010590: 7E5602FA FF0118FD
	v_mov_b32_dpp v44, v253 row_shl:8 row_mask:0xf bank_mask:0xf// 000000010598: 7E5802FA FF0108FD
	v_mov_b32_e32 v45, v252                                    // 0000000105A0: 7E5A03FC
	v_mov_b32_e32 v46, v253                                    // 0000000105A4: 7E5C03FD
	v_cndmask_b32_e64 v252, v45, v41, s[42:43]                 // 0000000105A8: D10000FC 00AA532D
	v_cndmask_b32_e64 v254, v45, v42, s[78:79]                 // 0000000105B0: D10000FE 013A552D
	v_cndmask_b32_e64 v253, v46, v43, s[42:43]                 // 0000000105B8: D10000FD 00AA572E
	v_cndmask_b32_e64 v255, v46, v44, s[78:79]                 // 0000000105C0: D10000FF 013A592E
	v_mul_f32_e32 v144, v55, v144                              // 0000000105C8: 0B212137
	v_mul_f32_e32 v145, v55, v145                              // 0000000105CC: 0B232337
	v_mul_f32_e32 v146, v55, v146                              // 0000000105D0: 0B252537
	v_mul_f32_e32 v147, v55, v147                              // 0000000105D4: 0B272737
	v_mul_f32_e32 v148, v55, v148                              // 0000000105D8: 0B292937
	v_mul_f32_e32 v149, v55, v149                              // 0000000105DC: 0B2B2B37
	v_mul_f32_e32 v150, v55, v150                              // 0000000105E0: 0B2D2D37
	v_mul_f32_e32 v151, v55, v151                              // 0000000105E4: 0B2F2F37
	v_mul_f32_e32 v152, v55, v152                              // 0000000105E8: 0B313137
	v_mul_f32_e32 v153, v55, v153                              // 0000000105EC: 0B333337
	v_mul_f32_e32 v154, v55, v154                              // 0000000105F0: 0B353537
	v_mul_f32_e32 v155, v55, v155                              // 0000000105F4: 0B373737
	v_mul_f32_e32 v156, v55, v156                              // 0000000105F8: 0B393937
	v_mul_f32_e32 v157, v55, v157                              // 0000000105FC: 0B3B3B37
	v_mul_f32_e32 v158, v55, v158                              // 000000010600: 0B3D3D37
	v_mul_f32_e32 v159, v55, v159                              // 000000010604: 0B3F3F37
	v_mul_f32_dpp v144, v248, v144 quad_perm:[0,0,0,0] row_mask:0xf bank_mask:0xf// 000000010608: 0B2120FA FF0000F8
	v_mul_f32_dpp v145, v248, v145 quad_perm:[1,1,1,1] row_mask:0xf bank_mask:0xf// 000000010610: 0B2322FA FF0055F8
	v_mul_f32_dpp v146, v248, v146 quad_perm:[2,2,2,2] row_mask:0xf bank_mask:0xf// 000000010618: 0B2524FA FF00AAF8
	v_mul_f32_dpp v147, v248, v147 quad_perm:[3,3,3,3] row_mask:0xf bank_mask:0xf// 000000010620: 0B2726FA FF00FFF8
	v_mul_f32_dpp v148, v249, v148 quad_perm:[0,0,0,0] row_mask:0xf bank_mask:0xf// 000000010628: 0B2928FA FF0000F9
	v_mul_f32_dpp v149, v249, v149 quad_perm:[1,1,1,1] row_mask:0xf bank_mask:0xf// 000000010630: 0B2B2AFA FF0055F9
	v_mul_f32_dpp v150, v249, v150 quad_perm:[2,2,2,2] row_mask:0xf bank_mask:0xf// 000000010638: 0B2D2CFA FF00AAF9
	v_mul_f32_dpp v151, v249, v151 quad_perm:[3,3,3,3] row_mask:0xf bank_mask:0xf// 000000010640: 0B2F2EFA FF00FFF9
	v_mul_f32_dpp v152, v250, v152 quad_perm:[0,0,0,0] row_mask:0xf bank_mask:0xf// 000000010648: 0B3130FA FF0000FA
	v_mul_f32_dpp v153, v250, v153 quad_perm:[1,1,1,1] row_mask:0xf bank_mask:0xf// 000000010650: 0B3332FA FF0055FA
	v_mul_f32_dpp v154, v250, v154 quad_perm:[2,2,2,2] row_mask:0xf bank_mask:0xf// 000000010658: 0B3534FA FF00AAFA
	v_mul_f32_dpp v155, v250, v155 quad_perm:[3,3,3,3] row_mask:0xf bank_mask:0xf// 000000010660: 0B3736FA FF00FFFA
	v_mul_f32_dpp v156, v251, v156 quad_perm:[0,0,0,0] row_mask:0xf bank_mask:0xf// 000000010668: 0B3938FA FF0000FB
	v_mul_f32_dpp v157, v251, v157 quad_perm:[1,1,1,1] row_mask:0xf bank_mask:0xf// 000000010670: 0B3B3AFA FF0055FB
	v_mul_f32_dpp v158, v251, v158 quad_perm:[2,2,2,2] row_mask:0xf bank_mask:0xf// 000000010678: 0B3D3CFA FF00AAFB
	v_mul_f32_dpp v159, v251, v159 quad_perm:[3,3,3,3] row_mask:0xf bank_mask:0xf// 000000010680: 0B3F3EFA FF00FFFB
	s_and_b32 s60, s72, 0xff                                   // 000000010688: 863CFF48 000000FF
	v_mov_b32_e32 v42, s60                                     // 000000010690: 7E54023C
	v_lshrrev_b32_e32 v240, 4, v0                              // 000000010694: 21E00084
	v_mul_i32_i24_e32 v240, 4, v240                            // 000000010698: 0DE1E084
	s_mul_i32 s60, s7, 16                                      // 00000001069C: 923C9007
	v_add_u32_e32 v240, s60, v240                              // 0000000106A0: 69E1E03C
	v_add_u32_e32 v241, 1, v240                                // 0000000106A4: 69E3E081
	v_add_u32_e32 v242, 2, v240                                // 0000000106A8: 69E5E082
	v_add_u32_e32 v243, 3, v240                                // 0000000106AC: 69E7E083
	v_mov_b32_e32 v41, 0xff800000                              // 0000000106B0: 7E5202FF FF800000
	v_cmp_lt_u32_e64 s[40:41], v240, v42                       // 0000000106B8: D0C90028 000255F0
	v_add_u32_e32 v240, 64, v240                               // 0000000106C0: 69E1E0C0
	s_nop 0                                                    // 0000000106C4: BF800000
	v_cndmask_b32_e64 v144, v41, v144, s[40:41]                // 0000000106C8: D1000090 00A32129
	v_cmp_lt_u32_e64 s[40:41], v241, v42                       // 0000000106D0: D0C90028 000255F1
	v_add_u32_e32 v241, 64, v241                               // 0000000106D8: 69E3E2C0
	s_nop 0                                                    // 0000000106DC: BF800000
	v_cndmask_b32_e64 v145, v41, v145, s[40:41]                // 0000000106E0: D1000091 00A32329
	v_cmp_lt_u32_e64 s[40:41], v242, v42                       // 0000000106E8: D0C90028 000255F2
	v_add_u32_e32 v242, 64, v242                               // 0000000106F0: 69E5E4C0
	s_nop 0                                                    // 0000000106F4: BF800000
	v_cndmask_b32_e64 v146, v41, v146, s[40:41]                // 0000000106F8: D1000092 00A32529
	v_cmp_lt_u32_e64 s[40:41], v243, v42                       // 000000010700: D0C90028 000255F3
	v_add_u32_e32 v243, 64, v243                               // 000000010708: 69E7E6C0
	s_nop 0                                                    // 00000001070C: BF800000
	v_cndmask_b32_e64 v147, v41, v147, s[40:41]                // 000000010710: D1000093 00A32729
	v_cmp_lt_u32_e64 s[40:41], v240, v42                       // 000000010718: D0C90028 000255F0
	v_add_u32_e32 v240, 64, v240                               // 000000010720: 69E1E0C0
	s_nop 0                                                    // 000000010724: BF800000
	v_cndmask_b32_e64 v148, v41, v148, s[40:41]                // 000000010728: D1000094 00A32929
	v_cmp_lt_u32_e64 s[40:41], v241, v42                       // 000000010730: D0C90028 000255F1
	v_add_u32_e32 v241, 64, v241                               // 000000010738: 69E3E2C0
	s_nop 0                                                    // 00000001073C: BF800000
	v_cndmask_b32_e64 v149, v41, v149, s[40:41]                // 000000010740: D1000095 00A32B29
	v_cmp_lt_u32_e64 s[40:41], v242, v42                       // 000000010748: D0C90028 000255F2
	v_add_u32_e32 v242, 64, v242                               // 000000010750: 69E5E4C0
	s_nop 0                                                    // 000000010754: BF800000
	v_cndmask_b32_e64 v150, v41, v150, s[40:41]                // 000000010758: D1000096 00A32D29
	v_cmp_lt_u32_e64 s[40:41], v243, v42                       // 000000010760: D0C90028 000255F3
	v_add_u32_e32 v243, 64, v243                               // 000000010768: 69E7E6C0
	s_nop 0                                                    // 00000001076C: BF800000
	v_cndmask_b32_e64 v151, v41, v151, s[40:41]                // 000000010770: D1000097 00A32F29
	v_cmp_lt_u32_e64 s[40:41], v240, v42                       // 000000010778: D0C90028 000255F0
	v_add_u32_e32 v240, 64, v240                               // 000000010780: 69E1E0C0
	s_nop 0                                                    // 000000010784: BF800000
	v_cndmask_b32_e64 v152, v41, v152, s[40:41]                // 000000010788: D1000098 00A33129
	v_cmp_lt_u32_e64 s[40:41], v241, v42                       // 000000010790: D0C90028 000255F1
	v_add_u32_e32 v241, 64, v241                               // 000000010798: 69E3E2C0
	s_nop 0                                                    // 00000001079C: BF800000
	v_cndmask_b32_e64 v153, v41, v153, s[40:41]                // 0000000107A0: D1000099 00A33329
	v_cmp_lt_u32_e64 s[40:41], v242, v42                       // 0000000107A8: D0C90028 000255F2
	v_add_u32_e32 v242, 64, v242                               // 0000000107B0: 69E5E4C0
	s_nop 0                                                    // 0000000107B4: BF800000
	v_cndmask_b32_e64 v154, v41, v154, s[40:41]                // 0000000107B8: D100009A 00A33529
	v_cmp_lt_u32_e64 s[40:41], v243, v42                       // 0000000107C0: D0C90028 000255F3
	v_add_u32_e32 v243, 64, v243                               // 0000000107C8: 69E7E6C0
	s_nop 0                                                    // 0000000107CC: BF800000
	v_cndmask_b32_e64 v155, v41, v155, s[40:41]                // 0000000107D0: D100009B 00A33729
	v_cmp_lt_u32_e64 s[40:41], v240, v42                       // 0000000107D8: D0C90028 000255F0
	v_add_u32_e32 v240, 64, v240                               // 0000000107E0: 69E1E0C0
	s_nop 0                                                    // 0000000107E4: BF800000
	v_cndmask_b32_e64 v156, v41, v156, s[40:41]                // 0000000107E8: D100009C 00A33929
	v_cmp_lt_u32_e64 s[40:41], v241, v42                       // 0000000107F0: D0C90028 000255F1
	v_add_u32_e32 v241, 64, v241                               // 0000000107F8: 69E3E2C0
	s_nop 0                                                    // 0000000107FC: BF800000
	v_cndmask_b32_e64 v157, v41, v157, s[40:41]                // 000000010800: D100009D 00A33B29
	v_cmp_lt_u32_e64 s[40:41], v242, v42                       // 000000010808: D0C90028 000255F2
	v_add_u32_e32 v242, 64, v242                               // 000000010810: 69E5E4C0
	s_nop 0                                                    // 000000010814: BF800000
	v_cndmask_b32_e64 v158, v41, v158, s[40:41]                // 000000010818: D100009E 00A33D29
	v_cmp_lt_u32_e64 s[40:41], v243, v42                       // 000000010820: D0C90028 000255F3
	v_add_u32_e32 v243, 64, v243                               // 000000010828: 69E7E6C0
	s_nop 0                                                    // 00000001082C: BF800000
	v_cndmask_b32_e64 v159, v41, v159, s[40:41]                // 000000010830: D100009F 00A33F29
	v_mov_b32_e32 v62, v144                                    // 000000010838: 7E7C0390
	v_max3_f32 v62, v144, v145, v62                            // 00000001083C: D1D3003E 04FB2390
	v_max3_f32 v62, v146, v147, v62                            // 000000010844: D1D3003E 04FB2792
	v_max3_f32 v62, v148, v149, v62                            // 00000001084C: D1D3003E 04FB2B94
	v_max3_f32 v62, v150, v151, v62                            // 000000010854: D1D3003E 04FB2F96
	v_max3_f32 v62, v152, v153, v62                            // 00000001085C: D1D3003E 04FB3398
	v_max3_f32 v62, v154, v155, v62                            // 000000010864: D1D3003E 04FB379A
	v_max3_f32 v62, v156, v157, v62                            // 00000001086C: D1D3003E 04FB3B9C
	v_max3_f32 v62, v158, v159, v62                            // 000000010874: D1D3003E 04FB3F9E
	ds_write_b32 v11, v62 offset:16896                         // 00000001087C: D81A4200 00003E0B
	v_mul_f32_e32 v232, v64, v232                              // 000000010884: 0BD1D140
	v_mul_f32_e32 v233, v64, v233                              // 000000010888: 0BD3D340
	v_mul_f32_e32 v234, v64, v234                              // 00000001088C: 0BD5D540
	v_mul_f32_e32 v235, v64, v235                              // 000000010890: 0BD7D740
	v_mul_f32_e32 v236, v64, v236                              // 000000010894: 0BD9D940
	v_mul_f32_e32 v237, v64, v237                              // 000000010898: 0BDBDB40
	v_mul_f32_e32 v238, v64, v238                              // 00000001089C: 0BDDDD40
	v_mul_f32_e32 v239, v64, v239                              // 0000000108A0: 0BDFDF40
	s_waitcnt lgkmcnt(0)                                       // 0000000108A4: BF8CC07F
	s_barrier                                                  // 0000000108A8: BF8A0000
	ds_read_b32 v80, v10 offset:16896                          // 0000000108AC: D86C4200 5000000A
	ds_read_b32 v81, v10 offset:16960                          // 0000000108B4: D86C4240 5100000A
	ds_read_b32 v82, v10 offset:17024                          // 0000000108BC: D86C4280 5200000A
	ds_read_b32 v83, v10 offset:17088                          // 0000000108C4: D86C42C0 5300000A
	ds_read_b32 v84, v10 offset:17152                          // 0000000108CC: D86C4300 5400000A
	ds_read_b32 v85, v10 offset:17216                          // 0000000108D4: D86C4340 5500000A
	ds_read_b32 v86, v10 offset:17280                          // 0000000108DC: D86C4380 5600000A
	ds_read_b32 v87, v10 offset:17344                          // 0000000108E4: D86C43C0 5700000A
	ds_read_b32 v88, v10 offset:17408                          // 0000000108EC: D86C4400 5800000A
	ds_read_b32 v89, v10 offset:17472                          // 0000000108F4: D86C4440 5900000A
	ds_read_b32 v90, v10 offset:17536                          // 0000000108FC: D86C4480 5A00000A
	ds_read_b32 v91, v10 offset:17600                          // 000000010904: D86C44C0 5B00000A
	ds_read_b32 v92, v10 offset:17664                          // 00000001090C: D86C4500 5C00000A
	ds_read_b32 v93, v10 offset:17728                          // 000000010914: D86C4540 5D00000A
	ds_read_b32 v94, v10 offset:17792                          // 00000001091C: D86C4580 5E00000A
	ds_read_b32 v95, v10 offset:17856                          // 000000010924: D86C45C0 5F00000A
	v_mul_f32_e32 v200, v59, v200                              // 00000001092C: 0B91913B
	v_mul_f32_e32 v201, v59, v201                              // 000000010930: 0B93933B
	v_mul_f32_e32 v202, v59, v202                              // 000000010934: 0B95953B
	v_mul_f32_e32 v203, v59, v203                              // 000000010938: 0B97973B
	v_mul_f32_e32 v204, v59, v204                              // 00000001093C: 0B99993B
	v_mul_f32_e32 v205, v59, v205                              // 000000010940: 0B9B9B3B
	v_mul_f32_e32 v206, v59, v206                              // 000000010944: 0B9D9D3B
	v_mul_f32_e32 v207, v59, v207                              // 000000010948: 0B9F9F3B
	s_waitcnt lgkmcnt(0)                                       // 00000001094C: BF8CC07F
	v_max3_f32 v62, v80, v81, v62                              // 000000010950: D1D3003E 04FAA350
	v_max3_f32 v62, v82, v83, v62                              // 000000010958: D1D3003E 04FAA752
	v_max3_f32 v62, v84, v85, v62                              // 000000010960: D1D3003E 04FAAB54
	v_max3_f32 v62, v86, v87, v62                              // 000000010968: D1D3003E 04FAAF56
	v_max3_f32 v62, v88, v89, v62                              // 000000010970: D1D3003E 04FAB358
	v_max3_f32 v62, v90, v91, v62                              // 000000010978: D1D3003E 04FAB75A
	v_max3_f32 v62, v92, v93, v62                              // 000000010980: D1D3003E 04FABB5C
	v_max3_f32 v62, v94, v95, v62                              // 000000010988: D1D3003E 04FABF5E
	v_mov_b32_e32 v41, 0xff800000                              // 000000010990: 7E5202FF FF800000
	v_cmp_eq_u32_e64 s[40:41], v41, v15                        // 000000010998: D0CA0028 00021F29
	s_nop 1                                                    // 0000000109A0: BF800001
	v_max_f32_e32 v18, v62, v15                                // 0000000109A4: 16241F3E
	v_mul_f32_e32 v67, s64, v18                                // 0000000109A8: 0A862440
	v_fma_f32 v144, v144, s64, -v67                            // 0000000109AC: D1CB0090 850C8190
	v_fma_f32 v145, v145, s64, -v67                            // 0000000109B4: D1CB0091 850C8191
	v_fma_f32 v146, v146, s64, -v67                            // 0000000109BC: D1CB0092 850C8192
	v_fma_f32 v147, v147, s64, -v67                            // 0000000109C4: D1CB0093 850C8193
	v_fma_f32 v148, v148, s64, -v67                            // 0000000109CC: D1CB0094 850C8194
	v_fma_f32 v149, v149, s64, -v67                            // 0000000109D4: D1CB0095 850C8195
	v_fma_f32 v150, v150, s64, -v67                            // 0000000109DC: D1CB0096 850C8196
	v_fma_f32 v151, v151, s64, -v67                            // 0000000109E4: D1CB0097 850C8197
	v_fma_f32 v152, v152, s64, -v67                            // 0000000109EC: D1CB0098 850C8198
	v_fma_f32 v153, v153, s64, -v67                            // 0000000109F4: D1CB0099 850C8199
	v_fma_f32 v154, v154, s64, -v67                            // 0000000109FC: D1CB009A 850C819A
	v_fma_f32 v155, v155, s64, -v67                            // 000000010A04: D1CB009B 850C819B
	v_fma_f32 v156, v156, s64, -v67                            // 000000010A0C: D1CB009C 850C819C
	v_fma_f32 v157, v157, s64, -v67                            // 000000010A14: D1CB009D 850C819D
	v_fma_f32 v158, v158, s64, -v67                            // 000000010A1C: D1CB009E 850C819E
	v_fma_f32 v159, v159, s64, -v67                            // 000000010A24: D1CB009F 850C819F
	v_exp_f32_e32 v144, v144                                   // 000000010A2C: 7F204190
	v_exp_f32_e32 v145, v145                                   // 000000010A30: 7F224191
	v_exp_f32_e32 v146, v146                                   // 000000010A34: 7F244192
	v_exp_f32_e32 v147, v147                                   // 000000010A38: 7F264193
	v_exp_f32_e32 v148, v148                                   // 000000010A3C: 7F284194
	v_exp_f32_e32 v149, v149                                   // 000000010A40: 7F2A4195
	v_exp_f32_e32 v150, v150                                   // 000000010A44: 7F2C4196
	v_exp_f32_e32 v151, v151                                   // 000000010A48: 7F2E4197
	v_exp_f32_e32 v152, v152                                   // 000000010A4C: 7F304198
	v_exp_f32_e32 v153, v153                                   // 000000010A50: 7F324199
	v_exp_f32_e32 v154, v154                                   // 000000010A54: 7F34419A
	v_exp_f32_e32 v155, v155                                   // 000000010A58: 7F36419B
	v_exp_f32_e32 v156, v156                                   // 000000010A5C: 7F38419C
	v_exp_f32_e32 v157, v157                                   // 000000010A60: 7F3A419D
	v_exp_f32_e32 v158, v158                                   // 000000010A64: 7F3C419E
	v_exp_f32_e32 v159, v159                                   // 000000010A68: 7F3E419F
	v_mul_f32_dpp v240, v252, v144 quad_perm:[0,0,0,0] row_mask:0xf bank_mask:0xf// 000000010A6C: 0BE120FA FF0000FC
	v_mul_f32_dpp v241, v252, v145 quad_perm:[1,1,1,1] row_mask:0xf bank_mask:0xf// 000000010A74: 0BE322FA FF0055FC
	v_mul_f32_dpp v242, v252, v146 quad_perm:[2,2,2,2] row_mask:0xf bank_mask:0xf// 000000010A7C: 0BE524FA FF00AAFC
	v_mul_f32_dpp v243, v252, v147 quad_perm:[3,3,3,3] row_mask:0xf bank_mask:0xf// 000000010A84: 0BE726FA FF00FFFC
	v_mul_f32_dpp v244, v253, v148 quad_perm:[0,0,0,0] row_mask:0xf bank_mask:0xf// 000000010A8C: 0BE928FA FF0000FD
	v_mul_f32_dpp v245, v253, v149 quad_perm:[1,1,1,1] row_mask:0xf bank_mask:0xf// 000000010A94: 0BEB2AFA FF0055FD
	v_mul_f32_dpp v246, v253, v150 quad_perm:[2,2,2,2] row_mask:0xf bank_mask:0xf// 000000010A9C: 0BED2CFA FF00AAFD
	v_mul_f32_dpp v247, v253, v151 quad_perm:[3,3,3,3] row_mask:0xf bank_mask:0xf// 000000010AA4: 0BEF2EFA FF00FFFD
	v_mul_f32_dpp v248, v254, v152 quad_perm:[0,0,0,0] row_mask:0xf bank_mask:0xf// 000000010AAC: 0BF130FA FF0000FE
	v_mul_f32_dpp v249, v254, v153 quad_perm:[1,1,1,1] row_mask:0xf bank_mask:0xf// 000000010AB4: 0BF332FA FF0055FE
	v_mul_f32_dpp v250, v254, v154 quad_perm:[2,2,2,2] row_mask:0xf bank_mask:0xf// 000000010ABC: 0BF534FA FF00AAFE
	v_mul_f32_dpp v251, v254, v155 quad_perm:[3,3,3,3] row_mask:0xf bank_mask:0xf// 000000010AC4: 0BF736FA FF00FFFE
	v_mul_f32_dpp v252, v255, v156 quad_perm:[0,0,0,0] row_mask:0xf bank_mask:0xf// 000000010ACC: 0BF938FA FF0000FF
	v_mul_f32_dpp v253, v255, v157 quad_perm:[1,1,1,1] row_mask:0xf bank_mask:0xf// 000000010AD4: 0BFB3AFA FF0055FF
	v_mul_f32_dpp v254, v255, v158 quad_perm:[2,2,2,2] row_mask:0xf bank_mask:0xf// 000000010ADC: 0BFD3CFA FF00AAFF
	v_mul_f32_dpp v255, v255, v159 quad_perm:[3,3,3,3] row_mask:0xf bank_mask:0xf// 000000010AE4: 0BFF3EFA FF00FFFF
	v_mov_b32_e32 v62, 0x358637bd                              // 000000010AEC: 7E7C02FF 358637BD
	v_max3_f32 v62, |v240|, |v241|, v62                        // 000000010AF4: D1D3033E 04FBE3F0
	v_max3_f32 v62, |v242|, |v243|, v62                        // 000000010AFC: D1D3033E 04FBE7F2
	v_max3_f32 v62, |v244|, |v245|, v62                        // 000000010B04: D1D3033E 04FBEBF4
	v_max3_f32 v62, |v246|, |v247|, v62                        // 000000010B0C: D1D3033E 04FBEFF6
	v_max3_f32 v62, |v248|, |v249|, v62                        // 000000010B14: D1D3033E 04FBF3F8
	v_max3_f32 v62, |v250|, |v251|, v62                        // 000000010B1C: D1D3033E 04FBF7FA
	v_max3_f32 v62, |v252|, |v253|, v62                        // 000000010B24: D1D3033E 04FBFBFC
	v_max3_f32 v62, |v254|, |v255|, v62                        // 000000010B2C: D1D3033E 04FBFFFE
	ds_write_b32 v11, v62 offset:20992                         // 000000010B34: D81A5200 00003E0B
	v_sub_f32_e32 v64, v15, v18                                // 000000010B3C: 0480250F
	v_cndmask_b32_e64 v64, v64, 0, s[40:41]                    // 000000010B40: D1000040 00A10140
	v_mov_b32_e32 v15, v18                                     // 000000010B48: 7E1E0312
	v_mul_f32_e32 v64, s64, v64                                // 000000010B4C: 0A808040
	v_exp_f32_e32 v64, v64                                     // 000000010B50: 7E804140
	s_waitcnt lgkmcnt(0)                                       // 000000010B54: BF8CC07F
	s_barrier                                                  // 000000010B58: BF8A0000
	ds_read_b32 v80, v10 offset:20992                          // 000000010B5C: D86C5200 5000000A
	ds_read_b32 v81, v10 offset:21056                          // 000000010B64: D86C5240 5100000A
	ds_read_b32 v82, v10 offset:21120                          // 000000010B6C: D86C5280 5200000A
	ds_read_b32 v83, v10 offset:21184                          // 000000010B74: D86C52C0 5300000A
	ds_read_b32 v84, v10 offset:21248                          // 000000010B7C: D86C5300 5400000A
	ds_read_b32 v85, v10 offset:21312                          // 000000010B84: D86C5340 5500000A
	ds_read_b32 v86, v10 offset:21376                          // 000000010B8C: D86C5380 5600000A
	ds_read_b32 v87, v10 offset:21440                          // 000000010B94: D86C53C0 5700000A
	ds_read_b32 v88, v10 offset:21504                          // 000000010B9C: D86C5400 5800000A
	ds_read_b32 v89, v10 offset:21568                          // 000000010BA4: D86C5440 5900000A
	ds_read_b32 v90, v10 offset:21632                          // 000000010BAC: D86C5480 5A00000A
	ds_read_b32 v91, v10 offset:21696                          // 000000010BB4: D86C54C0 5B00000A
	ds_read_b32 v92, v10 offset:21760                          // 000000010BBC: D86C5500 5C00000A
	ds_read_b32 v93, v10 offset:21824                          // 000000010BC4: D86C5540 5D00000A
	ds_read_b32 v94, v10 offset:21888                          // 000000010BCC: D86C5580 5E00000A
	ds_read_b32 v95, v10 offset:21952                          // 000000010BD4: D86C55C0 5F00000A
	v_mul_f32_e32 v48, v64, v48                                // 000000010BDC: 0A606140
	v_mov_b32_e32 v18, v144                                    // 000000010BE0: 7E240390
	v_add_f32_e32 v18, v145, v18                               // 000000010BE4: 02242591
	v_add_f32_e32 v18, v146, v18                               // 000000010BE8: 02242592
	v_add_f32_e32 v18, v147, v18                               // 000000010BEC: 02242593
	v_add_f32_e32 v18, v148, v18                               // 000000010BF0: 02242594
	v_add_f32_e32 v18, v149, v18                               // 000000010BF4: 02242595
	v_add_f32_e32 v18, v150, v18                               // 000000010BF8: 02242596
	v_add_f32_e32 v18, v151, v18                               // 000000010BFC: 02242597
	v_add_f32_e32 v18, v152, v18                               // 000000010C00: 02242598
	v_add_f32_e32 v18, v153, v18                               // 000000010C04: 02242599
	v_add_f32_e32 v18, v154, v18                               // 000000010C08: 0224259A
	v_add_f32_e32 v18, v155, v18                               // 000000010C0C: 0224259B
	v_add_f32_e32 v18, v156, v18                               // 000000010C10: 0224259C
	v_add_f32_e32 v18, v157, v18                               // 000000010C14: 0224259D
	v_add_f32_e32 v18, v158, v18                               // 000000010C18: 0224259E
	v_add_f32_e32 v18, v159, v18                               // 000000010C1C: 0224259F
	v_add_f32_e32 v48, v18, v48                                // 000000010C20: 02606112
	s_waitcnt lgkmcnt(0)                                       // 000000010C24: BF8CC07F
	v_max3_f32 v62, |v80|, |v81|, v62                          // 000000010C28: D1D3033E 04FAA350
	v_max3_f32 v62, |v82|, |v83|, v62                          // 000000010C30: D1D3033E 04FAA752
	v_max3_f32 v62, |v84|, |v85|, v62                          // 000000010C38: D1D3033E 04FAAB54
	v_max3_f32 v62, |v86|, |v87|, v62                          // 000000010C40: D1D3033E 04FAAF56
	v_max3_f32 v62, |v88|, |v89|, v62                          // 000000010C48: D1D3033E 04FAB358
	v_max3_f32 v62, |v90|, |v91|, v62                          // 000000010C50: D1D3033E 04FAB75A
	v_max3_f32 v62, |v92|, |v93|, v62                          // 000000010C58: D1D3033E 04FABB5C
	v_max3_f32 v62, |v94|, |v95|, v62                          // 000000010C60: D1D3033E 04FABF5E
	s_nop 2                                                    // 000000010C68: BF800002
	v_rcp_f32_e32 v62, v62                                     // 000000010C6C: 7E7C453E
	s_nop 1                                                    // 000000010C70: BF800001
	v_mul_f32_e32 v62, 0x43700000, v62                         // 000000010C74: 0A7C7CFF 43700000
	v_mul_f32_e32 v144, v62, v240                              // 000000010C7C: 0B21E13E
	v_mul_f32_e32 v145, v62, v241                              // 000000010C80: 0B23E33E
	v_mul_f32_e32 v146, v62, v242                              // 000000010C84: 0B25E53E
	v_mul_f32_e32 v147, v62, v243                              // 000000010C88: 0B27E73E
	v_mul_f32_e32 v148, v62, v244                              // 000000010C8C: 0B29E93E
	v_mul_f32_e32 v149, v62, v245                              // 000000010C90: 0B2BEB3E
	v_mul_f32_e32 v150, v62, v246                              // 000000010C94: 0B2DED3E
	v_mul_f32_e32 v151, v62, v247                              // 000000010C98: 0B2FEF3E
	v_mul_f32_e32 v152, v62, v248                              // 000000010C9C: 0B31F13E
	v_mul_f32_e32 v153, v62, v249                              // 000000010CA0: 0B33F33E
	v_mul_f32_e32 v154, v62, v250                              // 000000010CA4: 0B35F53E
	v_mul_f32_e32 v155, v62, v251                              // 000000010CA8: 0B37F73E
	v_mul_f32_e32 v156, v62, v252                              // 000000010CAC: 0B39F93E
	v_mul_f32_e32 v157, v62, v253                              // 000000010CB0: 0B3BFB3E
	v_mul_f32_e32 v158, v62, v254                              // 000000010CB4: 0B3DFD3E
	v_mul_f32_e32 v159, v62, v255                              // 000000010CB8: 0B3FFF3E
	v_cvt_pk_fp8_f32 v144, v144, v145                          // 000000010CBC: D2A20090 00032390
	v_cvt_pk_fp8_f32 v144, v146, v147 op_sel:[0,0,1]           // 000000010CC4: D2A24090 00032792
	v_cvt_pk_fp8_f32 v145, v148, v149                          // 000000010CCC: D2A20091 00032B94
	v_cvt_pk_fp8_f32 v145, v150, v151 op_sel:[0,0,1]           // 000000010CD4: D2A24091 00032F96
	v_cvt_pk_fp8_f32 v146, v152, v153                          // 000000010CDC: D2A20092 00033398
	v_cvt_pk_fp8_f32 v146, v154, v155 op_sel:[0,0,1]           // 000000010CE4: D2A24092 0003379A
	v_cvt_pk_fp8_f32 v147, v156, v157                          // 000000010CEC: D2A20093 00033B9C
	v_cvt_pk_fp8_f32 v147, v158, v159 op_sel:[0,0,1]           // 000000010CF4: D2A24093 00033F9E
	ds_write_b32 v13, v144 offset:29184                        // 000000010CFC: D81A7200 0000900D
	ds_write_b32 v13, v145 offset:30208                        // 000000010D04: D81A7600 0000910D
	ds_write_b32 v13, v146 offset:31232                        // 000000010D0C: D81A7A00 0000920D
	ds_write_b32 v13, v147 offset:32256                        // 000000010D14: D81A7E00 0000930D
	v_add_f32_e32 v232, v232, v200                             // 000000010D1C: 03D191E8
	v_add_f32_e32 v233, v233, v201                             // 000000010D20: 03D393E9
	v_add_f32_e32 v234, v234, v202                             // 000000010D24: 03D595EA
	v_add_f32_e32 v235, v235, v203                             // 000000010D28: 03D797EB
	v_add_f32_e32 v236, v236, v204                             // 000000010D2C: 03D999EC
	v_add_f32_e32 v237, v237, v205                             // 000000010D30: 03DB9BED
	v_add_f32_e32 v238, v238, v206                             // 000000010D34: 03DD9DEE
	v_add_f32_e32 v239, v239, v207                             // 000000010D38: 03DF9FEF
	v_rcp_f32_e32 v59, v62                                     // 000000010D3C: 7E76453E
	s_waitcnt lgkmcnt(0)                                       // 000000010D40: BF8CC07F
	s_barrier                                                  // 000000010D44: BF8A0000
	ds_read_b64 v[144:145], v12 offset:29184                   // 000000010D48: D8EC7200 9000000C
	ds_read_b64 v[146:147], v12 offset:29312                   // 000000010D50: D8EC7280 9200000C
	ds_read_b64 v[148:149], v12 offset:30208                   // 000000010D58: D8EC7600 9400000C
	ds_read_b64 v[150:151], v12 offset:30336                   // 000000010D60: D8EC7680 9600000C
	ds_read_b64 v[152:153], v12 offset:31232                   // 000000010D68: D8EC7A00 9800000C
	ds_read_b64 v[154:155], v12 offset:31360                   // 000000010D70: D8EC7A80 9A00000C
	ds_read_b64 v[156:157], v12 offset:32256                   // 000000010D78: D8EC7E00 9C00000C
	ds_read_b64 v[158:159], v12 offset:32384                   // 000000010D80: D8EC7E80 9E00000C
	s_waitcnt vmcnt(0)                                         // 000000010D88: BF8C0F70
	s_barrier                                                  // 000000010D8C: BF8A0000
	v_mfma_f32_16x16x32_fp8_fp8 v[192:195], a[96:97], v[128:129], 0// 000000010D90: D3F300C0 0A030160
	v_mfma_f32_16x16x32_fp8_fp8 v[192:195], a[98:99], v[130:131], v[192:195]// 000000010D98: D3F300C0 0F030562
	v_mfma_f32_16x16x32_fp8_fp8 v[192:195], a[100:101], v[132:133], v[192:195]// 000000010DA0: D3F300C0 0F030964
	v_mfma_f32_16x16x32_fp8_fp8 v[192:195], a[102:103], v[134:135], v[192:195]// 000000010DA8: D3F300C0 0F030D66
	v_mfma_f32_16x16x32_fp8_fp8 v[192:195], a[104:105], v[136:137], v[192:195]// 000000010DB0: D3F300C0 0F031168
	v_mfma_f32_16x16x32_fp8_fp8 v[192:195], a[106:107], v[138:139], v[192:195]// 000000010DB8: D3F300C0 0F03156A
	v_mfma_f32_16x16x32_fp8_fp8 v[192:195], a[108:109], v[140:141], v[192:195]// 000000010DC0: D3F300C0 0F03196C
	v_mfma_f32_16x16x32_fp8_fp8 v[192:195], a[110:111], v[142:143], v[192:195]// 000000010DC8: D3F300C0 0F031D6E
	v_mfma_f32_16x16x32_fp8_fp8 v[196:199], a[112:113], v[128:129], 0// 000000010DD0: D3F300C4 0A030170
	v_mfma_f32_16x16x32_fp8_fp8 v[196:199], a[114:115], v[130:131], v[196:199]// 000000010DD8: D3F300C4 0F130572
	v_mfma_f32_16x16x32_fp8_fp8 v[196:199], a[116:117], v[132:133], v[196:199]// 000000010DE0: D3F300C4 0F130974
	v_mfma_f32_16x16x32_fp8_fp8 v[196:199], a[118:119], v[134:135], v[196:199]// 000000010DE8: D3F300C4 0F130D76
	v_mfma_f32_16x16x32_fp8_fp8 v[196:199], a[120:121], v[136:137], v[196:199]// 000000010DF0: D3F300C4 0F131178
	v_mfma_f32_16x16x32_fp8_fp8 v[196:199], a[122:123], v[138:139], v[196:199]// 000000010DF8: D3F300C4 0F13157A
	v_mfma_f32_16x16x32_fp8_fp8 v[196:199], a[124:125], v[140:141], v[196:199]// 000000010E00: D3F300C4 0F13197C
	v_mfma_f32_16x16x32_fp8_fp8 v[196:199], a[126:127], v[142:143], v[196:199]// 000000010E08: D3F300C4 0F131D7E
	v_mfma_f32_16x16x32_fp8_fp8 v[200:203], a[96:97], v[144:145], 0// 000000010E10: D3F300C8 0A032160
	v_mfma_f32_16x16x32_fp8_fp8 v[200:203], a[98:99], v[146:147], v[200:203]// 000000010E18: D3F300C8 0F232562
	v_mfma_f32_16x16x32_fp8_fp8 v[200:203], a[100:101], v[148:149], v[200:203]// 000000010E20: D3F300C8 0F232964
	v_mfma_f32_16x16x32_fp8_fp8 v[200:203], a[102:103], v[150:151], v[200:203]// 000000010E28: D3F300C8 0F232D66
	v_mfma_f32_16x16x32_fp8_fp8 v[200:203], a[104:105], v[152:153], v[200:203]// 000000010E30: D3F300C8 0F233168
	v_mfma_f32_16x16x32_fp8_fp8 v[200:203], a[106:107], v[154:155], v[200:203]// 000000010E38: D3F300C8 0F23356A
	v_mfma_f32_16x16x32_fp8_fp8 v[200:203], a[108:109], v[156:157], v[200:203]// 000000010E40: D3F300C8 0F23396C
	v_mfma_f32_16x16x32_fp8_fp8 v[200:203], a[110:111], v[158:159], v[200:203]// 000000010E48: D3F300C8 0F233D6E
	v_mfma_f32_16x16x32_fp8_fp8 v[204:207], a[112:113], v[144:145], 0// 000000010E50: D3F300CC 0A032170
	v_mfma_f32_16x16x32_fp8_fp8 v[204:207], a[114:115], v[146:147], v[204:207]// 000000010E58: D3F300CC 0F332572
	v_mfma_f32_16x16x32_fp8_fp8 v[204:207], a[116:117], v[148:149], v[204:207]// 000000010E60: D3F300CC 0F332974
	v_mfma_f32_16x16x32_fp8_fp8 v[204:207], a[118:119], v[150:151], v[204:207]// 000000010E68: D3F300CC 0F332D76
	v_mfma_f32_16x16x32_fp8_fp8 v[204:207], a[120:121], v[152:153], v[204:207]// 000000010E70: D3F300CC 0F333178
	v_mfma_f32_16x16x32_fp8_fp8 v[204:207], a[122:123], v[154:155], v[204:207]// 000000010E78: D3F300CC 0F33357A
	v_mfma_f32_16x16x32_fp8_fp8 v[204:207], a[124:125], v[156:157], v[204:207]// 000000010E80: D3F300CC 0F33397C
	v_mfma_f32_16x16x32_fp8_fp8 v[204:207], a[126:127], v[158:159], v[204:207]// 000000010E88: D3F300CC 0F333D7E
	s_nop 4                                                    // 000000010E90: BF800004
	s_branch label_3B26                                        // 000000010E94: BF820000

0000000000010e98 <label_3B26>:
	s_mov_b32 s60, 0xa0                                        // 000000010E98: BEBC00FF 000000A0
	s_cmp_eq_i32 s88, s60                                      // 000000010EA0: BF003C58
	s_cbranch_scc1 label_3CAF                                  // 000000010EA4: BF850185
	v_mul_f32_e32 v224, v63, v224                              // 000000010EA8: 0BC1C13F
	v_mul_f32_e32 v225, v63, v225                              // 000000010EAC: 0BC3C33F
	v_mul_f32_e32 v226, v63, v226                              // 000000010EB0: 0BC5C53F
	v_mul_f32_e32 v227, v63, v227                              // 000000010EB4: 0BC7C73F
	v_mul_f32_e32 v228, v63, v228                              // 000000010EB8: 0BC9C93F
	v_mul_f32_e32 v229, v63, v229                              // 000000010EBC: 0BCBCB3F
	v_mul_f32_e32 v230, v63, v230                              // 000000010EC0: 0BCDCD3F
	v_mul_f32_e32 v231, v63, v231                              // 000000010EC4: 0BCFCF3F
	v_mul_f32_e32 v192, v58, v192                              // 000000010EC8: 0B81813A
	v_mul_f32_e32 v193, v58, v193                              // 000000010ECC: 0B83833A
	v_mul_f32_e32 v194, v58, v194                              // 000000010ED0: 0B85853A
	v_mul_f32_e32 v195, v58, v195                              // 000000010ED4: 0B87873A
	v_mul_f32_e32 v196, v58, v196                              // 000000010ED8: 0B89893A
	v_mul_f32_e32 v197, v58, v197                              // 000000010EDC: 0B8B8B3A
	v_mul_f32_e32 v198, v58, v198                              // 000000010EE0: 0B8D8D3A
	v_mul_f32_e32 v199, v58, v199                              // 000000010EE4: 0B8F8F3A
	v_add_f32_e32 v224, v224, v192                             // 000000010EE8: 03C181E0
	v_add_f32_e32 v225, v225, v193                             // 000000010EEC: 03C383E1
	v_add_f32_e32 v226, v226, v194                             // 000000010EF0: 03C585E2
	v_add_f32_e32 v227, v227, v195                             // 000000010EF4: 03C787E3
	v_add_f32_e32 v228, v228, v196                             // 000000010EF8: 03C989E4
	v_add_f32_e32 v229, v229, v197                             // 000000010EFC: 03CB8BE5
	v_add_f32_e32 v230, v230, v198                             // 000000010F00: 03CD8DE6
	v_add_f32_e32 v231, v231, v199                             // 000000010F04: 03CF8FE7
	ds_write_b32 v11, v47 offset:16896                         // 000000010F08: D81A4200 00002F0B
	s_waitcnt lgkmcnt(0)                                       // 000000010F10: BF8CC07F
	s_barrier                                                  // 000000010F14: BF8A0000
	ds_read_b32 v80, v10 offset:16896                          // 000000010F18: D86C4200 5000000A
	ds_read_b32 v81, v10 offset:16960                          // 000000010F20: D86C4240 5100000A
	ds_read_b32 v82, v10 offset:17024                          // 000000010F28: D86C4280 5200000A
	ds_read_b32 v83, v10 offset:17088                          // 000000010F30: D86C42C0 5300000A
	ds_read_b32 v84, v10 offset:17152                          // 000000010F38: D86C4300 5400000A
	ds_read_b32 v85, v10 offset:17216                          // 000000010F40: D86C4340 5500000A
	ds_read_b32 v86, v10 offset:17280                          // 000000010F48: D86C4380 5600000A
	ds_read_b32 v87, v10 offset:17344                          // 000000010F50: D86C43C0 5700000A
	ds_read_b32 v88, v10 offset:17408                          // 000000010F58: D86C4400 5800000A
	ds_read_b32 v89, v10 offset:17472                          // 000000010F60: D86C4440 5900000A
	ds_read_b32 v90, v10 offset:17536                          // 000000010F68: D86C4480 5A00000A
	ds_read_b32 v91, v10 offset:17600                          // 000000010F70: D86C44C0 5B00000A
	ds_read_b32 v92, v10 offset:17664                          // 000000010F78: D86C4500 5C00000A
	ds_read_b32 v93, v10 offset:17728                          // 000000010F80: D86C4540 5D00000A
	ds_read_b32 v94, v10 offset:17792                          // 000000010F88: D86C4580 5E00000A
	ds_read_b32 v95, v10 offset:17856                          // 000000010F90: D86C45C0 5F00000A
	s_waitcnt lgkmcnt(0)                                       // 000000010F98: BF8CC07F
	v_mov_b32_e32 v47, 0                                       // 000000010F9C: 7E5E0280
	v_add_f32_e32 v47, v80, v47                                // 000000010FA0: 025E5F50
	v_add_f32_e32 v47, v81, v47                                // 000000010FA4: 025E5F51
	v_add_f32_e32 v47, v82, v47                                // 000000010FA8: 025E5F52
	v_add_f32_e32 v47, v83, v47                                // 000000010FAC: 025E5F53
	v_add_f32_e32 v47, v84, v47                                // 000000010FB0: 025E5F54
	v_add_f32_e32 v47, v85, v47                                // 000000010FB4: 025E5F55
	v_add_f32_e32 v47, v86, v47                                // 000000010FB8: 025E5F56
	v_add_f32_e32 v47, v87, v47                                // 000000010FBC: 025E5F57
	v_add_f32_e32 v47, v88, v47                                // 000000010FC0: 025E5F58
	v_add_f32_e32 v47, v89, v47                                // 000000010FC4: 025E5F59
	v_add_f32_e32 v47, v90, v47                                // 000000010FC8: 025E5F5A
	v_add_f32_e32 v47, v91, v47                                // 000000010FCC: 025E5F5B
	v_add_f32_e32 v47, v92, v47                                // 000000010FD0: 025E5F5C
	v_add_f32_e32 v47, v93, v47                                // 000000010FD4: 025E5F5D
	v_add_f32_e32 v47, v94, v47                                // 000000010FD8: 025E5F5E
	v_add_f32_e32 v47, v95, v47                                // 000000010FDC: 025E5F5F
	s_nop 1                                                    // 000000010FE0: BF800001
	v_rcp_f32_e32 v47, v47                                     // 000000010FE4: 7E5E452F
	s_nop 1                                                    // 000000010FE8: BF800001
	v_mul_f32_e32 v224, v47, v224                              // 000000010FEC: 0BC1C12F
	v_mul_f32_e32 v225, v47, v225                              // 000000010FF0: 0BC3C32F
	v_mul_f32_e32 v226, v47, v226                              // 000000010FF4: 0BC5C52F
	v_mul_f32_e32 v227, v47, v227                              // 000000010FF8: 0BC7C72F
	v_mul_f32_e32 v228, v47, v228                              // 000000010FFC: 0BC9C92F
	v_mul_f32_e32 v229, v47, v229                              // 000000011000: 0BCBCB2F
	v_mul_f32_e32 v230, v47, v230                              // 000000011004: 0BCDCD2F
	v_mul_f32_e32 v231, v47, v231                              // 000000011008: 0BCFCF2F
	v_cmp_u_f32_e64 s[40:41], v224, v224                       // 00000001100C: D0480028 0003C1E0
	v_add3_u32 v21, v224, v24, 1                               // 000000011014: D1FF0015 020631E0
	v_cndmask_b32_e64 v41, v21, v23, s[40:41]                  // 00000001101C: D1000029 00A22F15
	v_cmp_u_f32_e64 s[40:41], v225, v225                       // 000000011024: D0480028 0003C3E1
	v_add3_u32 v21, v225, v24, 1                               // 00000001102C: D1FF0015 020631E1
	v_cndmask_b32_e64 v42, v21, v23, s[40:41]                  // 000000011034: D100002A 00A22F15
	v_perm_b32 v224, v42, v41, s52                             // 00000001103C: D1ED00E0 00D2532A
	v_cmp_u_f32_e64 s[40:41], v226, v226                       // 000000011044: D0480028 0003C5E2
	v_add3_u32 v21, v226, v24, 1                               // 00000001104C: D1FF0015 020631E2
	v_cndmask_b32_e64 v41, v21, v23, s[40:41]                  // 000000011054: D1000029 00A22F15
	v_cmp_u_f32_e64 s[40:41], v227, v227                       // 00000001105C: D0480028 0003C7E3
	v_add3_u32 v21, v227, v24, 1                               // 000000011064: D1FF0015 020631E3
	v_cndmask_b32_e64 v42, v21, v23, s[40:41]                  // 00000001106C: D100002A 00A22F15
	v_perm_b32 v225, v42, v41, s52                             // 000000011074: D1ED00E1 00D2532A
	v_cmp_u_f32_e64 s[40:41], v228, v228                       // 00000001107C: D0480028 0003C9E4
	v_add3_u32 v21, v228, v24, 1                               // 000000011084: D1FF0015 020631E4
	v_cndmask_b32_e64 v41, v21, v23, s[40:41]                  // 00000001108C: D1000029 00A22F15
	v_cmp_u_f32_e64 s[40:41], v229, v229                       // 000000011094: D0480028 0003CBE5
	v_add3_u32 v21, v229, v24, 1                               // 00000001109C: D1FF0015 020631E5
	v_cndmask_b32_e64 v42, v21, v23, s[40:41]                  // 0000000110A4: D100002A 00A22F15
	v_perm_b32 v226, v42, v41, s52                             // 0000000110AC: D1ED00E2 00D2532A
	v_cmp_u_f32_e64 s[40:41], v230, v230                       // 0000000110B4: D0480028 0003CDE6
	v_add3_u32 v21, v230, v24, 1                               // 0000000110BC: D1FF0015 020631E6
	v_cndmask_b32_e64 v41, v21, v23, s[40:41]                  // 0000000110C4: D1000029 00A22F15
	v_cmp_u_f32_e64 s[40:41], v231, v231                       // 0000000110CC: D0480028 0003CFE7
	v_add3_u32 v21, v231, v24, 1                               // 0000000110D4: D1FF0015 020631E7
	v_cndmask_b32_e64 v42, v21, v23, s[40:41]                  // 0000000110DC: D100002A 00A22F15
	v_perm_b32 v227, v42, v41, s52                             // 0000000110E4: D1ED00E3 00D2532A
	s_nop 1                                                    // 0000000110EC: BF800001
	v_lshrrev_b32_e32 v41, 4, v0                               // 0000000110F0: 20520084
	v_mul_i32_i24_e32 v45, 34, v41                             // 0000000110F4: 0C5A52A2
	v_and_b32_e32 v41, 15, v0                                  // 0000000110F8: 2652008F
	v_mul_i32_i24_e32 v42, 2, v41                              // 0000000110FC: 0C545282
	v_add_u32_e32 v45, v42, v45                                // 000000011100: 685A5B2A
	s_mul_i32 s60, s7, 0x88                                    // 000000011104: 923CFF07 00000088
	v_add_u32_e32 v45, s60, v45                                // 00000001110C: 685A5A3C
	v_lshlrev_b32_e32 v45, 2, v45                              // 000000011110: 245A5A82
	ds_write_b64 v45, v[224:225] offset:41472                  // 000000011114: D89AA200 0000E02D
	ds_write_b64 v45, v[226:227] offset:43648                  // 00000001111C: D89AAA80 0000E22D
	v_lshrrev_b32_e32 v41, 1, v0                               // 000000011124: 20520081
	v_mul_i32_i24_e32 v45, 34, v41                             // 000000011128: 0C5A52A2
	v_and_b32_e32 v42, 1, v0                                   // 00000001112C: 26540081
	v_add_u32_e32 v45, v42, v45                                // 000000011130: 685A5B2A
	s_mul_i32 s60, s7, 2                                       // 000000011134: 923C8207
	v_add_u32_e32 v45, s60, v45                                // 000000011138: 685A5A3C
	v_lshlrev_b32_e32 v45, 2, v45                              // 00000001113C: 245A5A82
	s_waitcnt lgkmcnt(0)                                       // 000000011140: BF8CC07F
	s_barrier                                                  // 000000011144: BF8A0000
	ds_read_b32 v224, v45 offset:41472                         // 000000011148: D86CA200 E000002D
	ds_read_b32 v225, v45 offset:41504                         // 000000011150: D86CA220 E100002D
	ds_read_b32 v226, v45 offset:41536                         // 000000011158: D86CA240 E200002D
	ds_read_b32 v227, v45 offset:41568                         // 000000011160: D86CA260 E300002D
	s_mul_i32 s60, s7, 0x100                                   // 000000011168: 923CFF07 00000100
	v_lshlrev_b32_e32 v41, 2, v0                               // 000000011170: 24520082
	v_add_u32_e64 v41, v41, s60                                // 000000011174: D1340029 00007929
	s_waitcnt lgkmcnt(0)                                       // 00000001117C: BF8CC07F
	buffer_store_dword v224, v41, s[8:11], 0 offen             // 000000011180: E0701000 8002E029
	buffer_store_dword v225, v41, s[8:11], 0 offen offset:1024 // 000000011188: E0701400 8002E129
	s_add_u32 s8, s75, s8                                      // 000000011190: 8008084B
	s_addc_u32 s9, 0, s9                                       // 000000011194: 82090980
	buffer_store_dword v226, v41, s[8:11], 0 offen             // 000000011198: E0701000 8002E229
	buffer_store_dword v227, v41, s[8:11], 0 offen offset:1024 // 0000000111A0: E0701400 8002E329
	s_add_u32 s8, s75, s8                                      // 0000000111A8: 8008084B
	s_addc_u32 s9, 0, s9                                       // 0000000111AC: 82090980
	v_mul_f32_e32 v232, v64, v232                              // 0000000111B0: 0BD1D140
	v_mul_f32_e32 v233, v64, v233                              // 0000000111B4: 0BD3D340
	v_mul_f32_e32 v234, v64, v234                              // 0000000111B8: 0BD5D540
	v_mul_f32_e32 v235, v64, v235                              // 0000000111BC: 0BD7D740
	v_mul_f32_e32 v236, v64, v236                              // 0000000111C0: 0BD9D940
	v_mul_f32_e32 v237, v64, v237                              // 0000000111C4: 0BDBDB40
	v_mul_f32_e32 v238, v64, v238                              // 0000000111C8: 0BDDDD40
	v_mul_f32_e32 v239, v64, v239                              // 0000000111CC: 0BDFDF40
	v_mul_f32_e32 v200, v59, v200                              // 0000000111D0: 0B91913B
	v_mul_f32_e32 v201, v59, v201                              // 0000000111D4: 0B93933B
	v_mul_f32_e32 v202, v59, v202                              // 0000000111D8: 0B95953B
	v_mul_f32_e32 v203, v59, v203                              // 0000000111DC: 0B97973B
	v_mul_f32_e32 v204, v59, v204                              // 0000000111E0: 0B99993B
	v_mul_f32_e32 v205, v59, v205                              // 0000000111E4: 0B9B9B3B
	v_mul_f32_e32 v206, v59, v206                              // 0000000111E8: 0B9D9D3B
	v_mul_f32_e32 v207, v59, v207                              // 0000000111EC: 0B9F9F3B
	v_add_f32_e32 v232, v232, v200                             // 0000000111F0: 03D191E8
	v_add_f32_e32 v233, v233, v201                             // 0000000111F4: 03D393E9
	v_add_f32_e32 v234, v234, v202                             // 0000000111F8: 03D595EA
	v_add_f32_e32 v235, v235, v203                             // 0000000111FC: 03D797EB
	v_add_f32_e32 v236, v236, v204                             // 000000011200: 03D999EC
	v_add_f32_e32 v237, v237, v205                             // 000000011204: 03DB9BED
	v_add_f32_e32 v238, v238, v206                             // 000000011208: 03DD9DEE
	v_add_f32_e32 v239, v239, v207                             // 00000001120C: 03DF9FEF
	ds_write_b32 v11, v48 offset:16896                         // 000000011210: D81A4200 0000300B
	s_waitcnt lgkmcnt(0)                                       // 000000011218: BF8CC07F
	s_barrier                                                  // 00000001121C: BF8A0000
	ds_read_b32 v80, v10 offset:16896                          // 000000011220: D86C4200 5000000A
	ds_read_b32 v81, v10 offset:16960                          // 000000011228: D86C4240 5100000A
	ds_read_b32 v82, v10 offset:17024                          // 000000011230: D86C4280 5200000A
	ds_read_b32 v83, v10 offset:17088                          // 000000011238: D86C42C0 5300000A
	ds_read_b32 v84, v10 offset:17152                          // 000000011240: D86C4300 5400000A
	ds_read_b32 v85, v10 offset:17216                          // 000000011248: D86C4340 5500000A
	ds_read_b32 v86, v10 offset:17280                          // 000000011250: D86C4380 5600000A
	ds_read_b32 v87, v10 offset:17344                          // 000000011258: D86C43C0 5700000A
	ds_read_b32 v88, v10 offset:17408                          // 000000011260: D86C4400 5800000A
	ds_read_b32 v89, v10 offset:17472                          // 000000011268: D86C4440 5900000A
	ds_read_b32 v90, v10 offset:17536                          // 000000011270: D86C4480 5A00000A
	ds_read_b32 v91, v10 offset:17600                          // 000000011278: D86C44C0 5B00000A
	ds_read_b32 v92, v10 offset:17664                          // 000000011280: D86C4500 5C00000A
	ds_read_b32 v93, v10 offset:17728                          // 000000011288: D86C4540 5D00000A
	ds_read_b32 v94, v10 offset:17792                          // 000000011290: D86C4580 5E00000A
	ds_read_b32 v95, v10 offset:17856                          // 000000011298: D86C45C0 5F00000A
	s_waitcnt lgkmcnt(0)                                       // 0000000112A0: BF8CC07F
	v_mov_b32_e32 v48, 0                                       // 0000000112A4: 7E600280
	v_add_f32_e32 v48, v80, v48                                // 0000000112A8: 02606150
	v_add_f32_e32 v48, v81, v48                                // 0000000112AC: 02606151
	v_add_f32_e32 v48, v82, v48                                // 0000000112B0: 02606152
	v_add_f32_e32 v48, v83, v48                                // 0000000112B4: 02606153
	v_add_f32_e32 v48, v84, v48                                // 0000000112B8: 02606154
	v_add_f32_e32 v48, v85, v48                                // 0000000112BC: 02606155
	v_add_f32_e32 v48, v86, v48                                // 0000000112C0: 02606156
	v_add_f32_e32 v48, v87, v48                                // 0000000112C4: 02606157
	v_add_f32_e32 v48, v88, v48                                // 0000000112C8: 02606158
	v_add_f32_e32 v48, v89, v48                                // 0000000112CC: 02606159
	v_add_f32_e32 v48, v90, v48                                // 0000000112D0: 0260615A
	v_add_f32_e32 v48, v91, v48                                // 0000000112D4: 0260615B
	v_add_f32_e32 v48, v92, v48                                // 0000000112D8: 0260615C
	v_add_f32_e32 v48, v93, v48                                // 0000000112DC: 0260615D
	v_add_f32_e32 v48, v94, v48                                // 0000000112E0: 0260615E
	v_add_f32_e32 v48, v95, v48                                // 0000000112E4: 0260615F
	s_nop 1                                                    // 0000000112E8: BF800001
	v_rcp_f32_e32 v48, v48                                     // 0000000112EC: 7E604530
	s_nop 1                                                    // 0000000112F0: BF800001
	v_mul_f32_e32 v232, v48, v232                              // 0000000112F4: 0BD1D130
	v_mul_f32_e32 v233, v48, v233                              // 0000000112F8: 0BD3D330
	v_mul_f32_e32 v234, v48, v234                              // 0000000112FC: 0BD5D530
	v_mul_f32_e32 v235, v48, v235                              // 000000011300: 0BD7D730
	v_mul_f32_e32 v236, v48, v236                              // 000000011304: 0BD9D930
	v_mul_f32_e32 v237, v48, v237                              // 000000011308: 0BDBDB30
	v_mul_f32_e32 v238, v48, v238                              // 00000001130C: 0BDDDD30
	v_mul_f32_e32 v239, v48, v239                              // 000000011310: 0BDFDF30
	v_cmp_u_f32_e64 s[40:41], v232, v232                       // 000000011314: D0480028 0003D1E8
	v_add3_u32 v21, v232, v24, 1                               // 00000001131C: D1FF0015 020631E8
	v_cndmask_b32_e64 v41, v21, v23, s[40:41]                  // 000000011324: D1000029 00A22F15
	v_cmp_u_f32_e64 s[40:41], v233, v233                       // 00000001132C: D0480028 0003D3E9
	v_add3_u32 v21, v233, v24, 1                               // 000000011334: D1FF0015 020631E9
	v_cndmask_b32_e64 v42, v21, v23, s[40:41]                  // 00000001133C: D100002A 00A22F15
	v_perm_b32 v232, v42, v41, s52                             // 000000011344: D1ED00E8 00D2532A
	v_cmp_u_f32_e64 s[40:41], v234, v234                       // 00000001134C: D0480028 0003D5EA
	v_add3_u32 v21, v234, v24, 1                               // 000000011354: D1FF0015 020631EA
	v_cndmask_b32_e64 v41, v21, v23, s[40:41]                  // 00000001135C: D1000029 00A22F15
	v_cmp_u_f32_e64 s[40:41], v235, v235                       // 000000011364: D0480028 0003D7EB
	v_add3_u32 v21, v235, v24, 1                               // 00000001136C: D1FF0015 020631EB
	v_cndmask_b32_e64 v42, v21, v23, s[40:41]                  // 000000011374: D100002A 00A22F15
	v_perm_b32 v233, v42, v41, s52                             // 00000001137C: D1ED00E9 00D2532A
	v_cmp_u_f32_e64 s[40:41], v236, v236                       // 000000011384: D0480028 0003D9EC
	v_add3_u32 v21, v236, v24, 1                               // 00000001138C: D1FF0015 020631EC
	v_cndmask_b32_e64 v41, v21, v23, s[40:41]                  // 000000011394: D1000029 00A22F15
	v_cmp_u_f32_e64 s[40:41], v237, v237                       // 00000001139C: D0480028 0003DBED
	v_add3_u32 v21, v237, v24, 1                               // 0000000113A4: D1FF0015 020631ED
	v_cndmask_b32_e64 v42, v21, v23, s[40:41]                  // 0000000113AC: D100002A 00A22F15
	v_perm_b32 v234, v42, v41, s52                             // 0000000113B4: D1ED00EA 00D2532A
	v_cmp_u_f32_e64 s[40:41], v238, v238                       // 0000000113BC: D0480028 0003DDEE
	v_add3_u32 v21, v238, v24, 1                               // 0000000113C4: D1FF0015 020631EE
	v_cndmask_b32_e64 v41, v21, v23, s[40:41]                  // 0000000113CC: D1000029 00A22F15
	v_cmp_u_f32_e64 s[40:41], v239, v239                       // 0000000113D4: D0480028 0003DFEF
	v_add3_u32 v21, v239, v24, 1                               // 0000000113DC: D1FF0015 020631EF
	v_cndmask_b32_e64 v42, v21, v23, s[40:41]                  // 0000000113E4: D100002A 00A22F15
	v_perm_b32 v235, v42, v41, s52                             // 0000000113EC: D1ED00EB 00D2532A
	s_nop 1                                                    // 0000000113F4: BF800001
	v_lshrrev_b32_e32 v41, 4, v0                               // 0000000113F8: 20520084
	v_mul_i32_i24_e32 v45, 34, v41                             // 0000000113FC: 0C5A52A2
	v_and_b32_e32 v41, 15, v0                                  // 000000011400: 2652008F
	v_mul_i32_i24_e32 v42, 2, v41                              // 000000011404: 0C545282
	v_add_u32_e32 v45, v42, v45                                // 000000011408: 685A5B2A
	s_mul_i32 s60, s7, 0x88                                    // 00000001140C: 923CFF07 00000088
	v_add_u32_e32 v45, s60, v45                                // 000000011414: 685A5A3C
	v_lshlrev_b32_e32 v45, 2, v45                              // 000000011418: 245A5A82
	ds_write_b64 v45, v[232:233] offset:41472                  // 00000001141C: D89AA200 0000E82D
	ds_write_b64 v45, v[234:235] offset:43648                  // 000000011424: D89AAA80 0000EA2D
	v_lshrrev_b32_e32 v41, 1, v0                               // 00000001142C: 20520081
	v_mul_i32_i24_e32 v45, 34, v41                             // 000000011430: 0C5A52A2
	v_and_b32_e32 v42, 1, v0                                   // 000000011434: 26540081
	v_add_u32_e32 v45, v42, v45                                // 000000011438: 685A5B2A
	s_mul_i32 s60, s7, 2                                       // 00000001143C: 923C8207
	v_add_u32_e32 v45, s60, v45                                // 000000011440: 685A5A3C
	v_lshlrev_b32_e32 v45, 2, v45                              // 000000011444: 245A5A82
	s_waitcnt lgkmcnt(0)                                       // 000000011448: BF8CC07F
	s_barrier                                                  // 00000001144C: BF8A0000
	ds_read_b32 v232, v45 offset:41472                         // 000000011450: D86CA200 E800002D
	ds_read_b32 v233, v45 offset:41504                         // 000000011458: D86CA220 E900002D
	ds_read_b32 v234, v45 offset:41536                         // 000000011460: D86CA240 EA00002D
	ds_read_b32 v235, v45 offset:41568                         // 000000011468: D86CA260 EB00002D
	s_mul_i32 s60, s7, 0x100                                   // 000000011470: 923CFF07 00000100
	v_lshlrev_b32_e32 v41, 2, v0                               // 000000011478: 24520082
	v_add_u32_e64 v41, v41, s60                                // 00000001147C: D1340029 00007929
	s_waitcnt lgkmcnt(0)                                       // 000000011484: BF8CC07F
	buffer_store_dword v232, v41, s[8:11], 0 offen             // 000000011488: E0701000 8002E829
	buffer_store_dword v233, v41, s[8:11], 0 offen offset:1024 // 000000011490: E0701400 8002E929
	s_add_u32 s8, s75, s8                                      // 000000011498: 8008084B
	s_addc_u32 s9, 0, s9                                       // 00000001149C: 82090980
	buffer_store_dword v234, v41, s[8:11], 0 offen             // 0000000114A0: E0701000 8002EA29
	buffer_store_dword v235, v41, s[8:11], 0 offen offset:1024 // 0000000114A8: E0701400 8002EB29
	s_add_u32 s8, s75, s8                                      // 0000000114B0: 8008084B
	s_addc_u32 s9, 0, s9                                       // 0000000114B4: 82090980
	s_branch label_3E2A                                        // 0000000114B8: BF82017B

00000000000114bc <label_3CAF>:
	v_mul_f32_e32 v224, v63, v224                              // 0000000114BC: 0BC1C13F
	v_mul_f32_e32 v225, v63, v225                              // 0000000114C0: 0BC3C33F
	v_mul_f32_e32 v226, v63, v226                              // 0000000114C4: 0BC5C53F
	v_mul_f32_e32 v227, v63, v227                              // 0000000114C8: 0BC7C73F
	v_mul_f32_e32 v228, v63, v228                              // 0000000114CC: 0BC9C93F
	v_mul_f32_e32 v229, v63, v229                              // 0000000114D0: 0BCBCB3F
	v_mul_f32_e32 v230, v63, v230                              // 0000000114D4: 0BCDCD3F
	v_mul_f32_e32 v231, v63, v231                              // 0000000114D8: 0BCFCF3F
	v_mul_f32_e32 v192, v58, v192                              // 0000000114DC: 0B81813A
	v_mul_f32_e32 v193, v58, v193                              // 0000000114E0: 0B83833A
	v_mul_f32_e32 v194, v58, v194                              // 0000000114E4: 0B85853A
	v_mul_f32_e32 v195, v58, v195                              // 0000000114E8: 0B87873A
	v_mul_f32_e32 v196, v58, v196                              // 0000000114EC: 0B89893A
	v_mul_f32_e32 v197, v58, v197                              // 0000000114F0: 0B8B8B3A
	v_mul_f32_e32 v198, v58, v198                              // 0000000114F4: 0B8D8D3A
	v_mul_f32_e32 v199, v58, v199                              // 0000000114F8: 0B8F8F3A
	v_add_f32_e32 v224, v224, v192                             // 0000000114FC: 03C181E0
	v_add_f32_e32 v225, v225, v193                             // 000000011500: 03C383E1
	v_add_f32_e32 v226, v226, v194                             // 000000011504: 03C585E2
	v_add_f32_e32 v227, v227, v195                             // 000000011508: 03C787E3
	v_add_f32_e32 v228, v228, v196                             // 00000001150C: 03C989E4
	v_add_f32_e32 v229, v229, v197                             // 000000011510: 03CB8BE5
	v_add_f32_e32 v230, v230, v198                             // 000000011514: 03CD8DE6
	v_add_f32_e32 v231, v231, v199                             // 000000011518: 03CF8FE7
	ds_write_b32 v11, v47 offset:16896                         // 00000001151C: D81A4200 00002F0B
	s_waitcnt lgkmcnt(0)                                       // 000000011524: BF8CC07F
	s_barrier                                                  // 000000011528: BF8A0000
	ds_read_b32 v80, v10 offset:16896                          // 00000001152C: D86C4200 5000000A
	ds_read_b32 v81, v10 offset:16960                          // 000000011534: D86C4240 5100000A
	ds_read_b32 v82, v10 offset:17024                          // 00000001153C: D86C4280 5200000A
	ds_read_b32 v83, v10 offset:17088                          // 000000011544: D86C42C0 5300000A
	ds_read_b32 v84, v10 offset:17152                          // 00000001154C: D86C4300 5400000A
	ds_read_b32 v85, v10 offset:17216                          // 000000011554: D86C4340 5500000A
	ds_read_b32 v86, v10 offset:17280                          // 00000001155C: D86C4380 5600000A
	ds_read_b32 v87, v10 offset:17344                          // 000000011564: D86C43C0 5700000A
	ds_read_b32 v88, v10 offset:17408                          // 00000001156C: D86C4400 5800000A
	ds_read_b32 v89, v10 offset:17472                          // 000000011574: D86C4440 5900000A
	ds_read_b32 v90, v10 offset:17536                          // 00000001157C: D86C4480 5A00000A
	ds_read_b32 v91, v10 offset:17600                          // 000000011584: D86C44C0 5B00000A
	ds_read_b32 v92, v10 offset:17664                          // 00000001158C: D86C4500 5C00000A
	ds_read_b32 v93, v10 offset:17728                          // 000000011594: D86C4540 5D00000A
	ds_read_b32 v94, v10 offset:17792                          // 00000001159C: D86C4580 5E00000A
	ds_read_b32 v95, v10 offset:17856                          // 0000000115A4: D86C45C0 5F00000A
	s_waitcnt lgkmcnt(0)                                       // 0000000115AC: BF8CC07F
	v_mov_b32_e32 v47, 0                                       // 0000000115B0: 7E5E0280
	v_add_f32_e32 v47, v80, v47                                // 0000000115B4: 025E5F50
	v_add_f32_e32 v47, v81, v47                                // 0000000115B8: 025E5F51
	v_add_f32_e32 v47, v82, v47                                // 0000000115BC: 025E5F52
	v_add_f32_e32 v47, v83, v47                                // 0000000115C0: 025E5F53
	v_add_f32_e32 v47, v84, v47                                // 0000000115C4: 025E5F54
	v_add_f32_e32 v47, v85, v47                                // 0000000115C8: 025E5F55
	v_add_f32_e32 v47, v86, v47                                // 0000000115CC: 025E5F56
	v_add_f32_e32 v47, v87, v47                                // 0000000115D0: 025E5F57
	v_add_f32_e32 v47, v88, v47                                // 0000000115D4: 025E5F58
	v_add_f32_e32 v47, v89, v47                                // 0000000115D8: 025E5F59
	v_add_f32_e32 v47, v90, v47                                // 0000000115DC: 025E5F5A
	v_add_f32_e32 v47, v91, v47                                // 0000000115E0: 025E5F5B
	v_add_f32_e32 v47, v92, v47                                // 0000000115E4: 025E5F5C
	v_add_f32_e32 v47, v93, v47                                // 0000000115E8: 025E5F5D
	v_add_f32_e32 v47, v94, v47                                // 0000000115EC: 025E5F5E
	v_add_f32_e32 v47, v95, v47                                // 0000000115F0: 025E5F5F
	s_nop 1                                                    // 0000000115F4: BF800001
	v_rcp_f32_e32 v47, v47                                     // 0000000115F8: 7E5E452F
	s_nop 1                                                    // 0000000115FC: BF800001
	v_mul_f32_e32 v224, v47, v224                              // 000000011600: 0BC1C12F
	v_mul_f32_e32 v225, v47, v225                              // 000000011604: 0BC3C32F
	v_mul_f32_e32 v226, v47, v226                              // 000000011608: 0BC5C52F
	v_mul_f32_e32 v227, v47, v227                              // 00000001160C: 0BC7C72F
	v_mul_f32_e32 v228, v47, v228                              // 000000011610: 0BC9C92F
	v_mul_f32_e32 v229, v47, v229                              // 000000011614: 0BCBCB2F
	v_mul_f32_e32 v230, v47, v230                              // 000000011618: 0BCDCD2F
	v_mul_f32_e32 v231, v47, v231                              // 00000001161C: 0BCFCF2F
	v_cmp_u_f32_e64 s[40:41], v224, v224                       // 000000011620: D0480028 0003C1E0
	v_add3_u32 v21, v224, v24, 1                               // 000000011628: D1FF0015 020631E0
	v_cndmask_b32_e64 v41, v21, v23, s[40:41]                  // 000000011630: D1000029 00A22F15
	v_cmp_u_f32_e64 s[40:41], v225, v225                       // 000000011638: D0480028 0003C3E1
	v_add3_u32 v21, v225, v24, 1                               // 000000011640: D1FF0015 020631E1
	v_cndmask_b32_e64 v42, v21, v23, s[40:41]                  // 000000011648: D100002A 00A22F15
	v_perm_b32 v224, v42, v41, s52                             // 000000011650: D1ED00E0 00D2532A
	v_cmp_u_f32_e64 s[40:41], v226, v226                       // 000000011658: D0480028 0003C5E2
	v_add3_u32 v21, v226, v24, 1                               // 000000011660: D1FF0015 020631E2
	v_cndmask_b32_e64 v41, v21, v23, s[40:41]                  // 000000011668: D1000029 00A22F15
	v_cmp_u_f32_e64 s[40:41], v227, v227                       // 000000011670: D0480028 0003C7E3
	v_add3_u32 v21, v227, v24, 1                               // 000000011678: D1FF0015 020631E3
	v_cndmask_b32_e64 v42, v21, v23, s[40:41]                  // 000000011680: D100002A 00A22F15
	v_perm_b32 v225, v42, v41, s52                             // 000000011688: D1ED00E1 00D2532A
	v_cmp_u_f32_e64 s[40:41], v228, v228                       // 000000011690: D0480028 0003C9E4
	v_add3_u32 v21, v228, v24, 1                               // 000000011698: D1FF0015 020631E4
	v_cndmask_b32_e64 v41, v21, v23, s[40:41]                  // 0000000116A0: D1000029 00A22F15
	v_cmp_u_f32_e64 s[40:41], v229, v229                       // 0000000116A8: D0480028 0003CBE5
	v_add3_u32 v21, v229, v24, 1                               // 0000000116B0: D1FF0015 020631E5
	v_cndmask_b32_e64 v42, v21, v23, s[40:41]                  // 0000000116B8: D100002A 00A22F15
	v_perm_b32 v226, v42, v41, s52                             // 0000000116C0: D1ED00E2 00D2532A
	v_cmp_u_f32_e64 s[40:41], v230, v230                       // 0000000116C8: D0480028 0003CDE6
	v_add3_u32 v21, v230, v24, 1                               // 0000000116D0: D1FF0015 020631E6
	v_cndmask_b32_e64 v41, v21, v23, s[40:41]                  // 0000000116D8: D1000029 00A22F15
	v_cmp_u_f32_e64 s[40:41], v231, v231                       // 0000000116E0: D0480028 0003CFE7
	v_add3_u32 v21, v231, v24, 1                               // 0000000116E8: D1FF0015 020631E7
	v_cndmask_b32_e64 v42, v21, v23, s[40:41]                  // 0000000116F0: D100002A 00A22F15
	v_perm_b32 v227, v42, v41, s52                             // 0000000116F8: D1ED00E3 00D2532A
	s_nop 1                                                    // 000000011700: BF800001
	v_lshrrev_b32_e32 v41, 4, v0                               // 000000011704: 20520084
	v_mul_i32_i24_e32 v45, 34, v41                             // 000000011708: 0C5A52A2
	v_and_b32_e32 v41, 15, v0                                  // 00000001170C: 2652008F
	v_mul_i32_i24_e32 v42, 2, v41                              // 000000011710: 0C545282
	v_add_u32_e32 v45, v42, v45                                // 000000011714: 685A5B2A
	s_mul_i32 s60, s7, 0x88                                    // 000000011718: 923CFF07 00000088
	v_add_u32_e32 v45, s60, v45                                // 000000011720: 685A5A3C
	v_lshlrev_b32_e32 v45, 2, v45                              // 000000011724: 245A5A82
	ds_write_b64 v45, v[224:225] offset:41472                  // 000000011728: D89AA200 0000E02D
	ds_write_b64 v45, v[226:227] offset:43648                  // 000000011730: D89AAA80 0000E22D
	v_lshrrev_b32_e32 v41, 1, v0                               // 000000011738: 20520081
	v_mul_i32_i24_e32 v45, 34, v41                             // 00000001173C: 0C5A52A2
	v_and_b32_e32 v42, 1, v0                                   // 000000011740: 26540081
	v_add_u32_e32 v45, v42, v45                                // 000000011744: 685A5B2A
	s_mul_i32 s60, s7, 2                                       // 000000011748: 923C8207
	v_add_u32_e32 v45, s60, v45                                // 00000001174C: 685A5A3C
	v_lshlrev_b32_e32 v45, 2, v45                              // 000000011750: 245A5A82
	s_waitcnt lgkmcnt(0)                                       // 000000011754: BF8CC07F
	s_barrier                                                  // 000000011758: BF8A0000
	ds_read_b32 v224, v45 offset:41472                         // 00000001175C: D86CA200 E000002D
	ds_read_b32 v225, v45 offset:41504                         // 000000011764: D86CA220 E100002D
	ds_read_b32 v226, v45 offset:41536                         // 00000001176C: D86CA240 E200002D
	ds_read_b32 v227, v45 offset:41568                         // 000000011774: D86CA260 E300002D
	s_mul_i32 s60, s7, 0x100                                   // 00000001177C: 923CFF07 00000100
	v_lshlrev_b32_e32 v41, 2, v0                               // 000000011784: 24520082
	v_add_u32_e64 v41, v41, s60                                // 000000011788: D1340029 00007929
	s_waitcnt lgkmcnt(0)                                       // 000000011790: BF8CC07F
	buffer_store_dword v224, v41, s[8:11], 0 offen             // 000000011794: E0701000 8002E029
	buffer_store_dword v225, v41, s[8:11], 0 offen offset:1024 // 00000001179C: E0701400 8002E129
	s_add_u32 s8, s75, s8                                      // 0000000117A4: 8008084B
	s_addc_u32 s9, 0, s9                                       // 0000000117A8: 82090980
	buffer_store_dword v226, v41, s[8:11], 0 offen             // 0000000117AC: E0701000 8002E229
	buffer_store_dword v227, v41, s[8:11], 0 offen offset:1024 // 0000000117B4: E0701400 8002E329
	s_add_u32 s8, s75, s8                                      // 0000000117BC: 8008084B
	s_addc_u32 s9, 0, s9                                       // 0000000117C0: 82090980
	v_mul_f32_e32 v232, v64, v232                              // 0000000117C4: 0BD1D140
	v_mul_f32_e32 v233, v64, v233                              // 0000000117C8: 0BD3D340
	v_mul_f32_e32 v234, v64, v234                              // 0000000117CC: 0BD5D540
	v_mul_f32_e32 v235, v64, v235                              // 0000000117D0: 0BD7D740
	v_mul_f32_e32 v236, v64, v236                              // 0000000117D4: 0BD9D940
	v_mul_f32_e32 v237, v64, v237                              // 0000000117D8: 0BDBDB40
	v_mul_f32_e32 v238, v64, v238                              // 0000000117DC: 0BDDDD40
	v_mul_f32_e32 v239, v64, v239                              // 0000000117E0: 0BDFDF40
	v_mul_f32_e32 v200, v59, v200                              // 0000000117E4: 0B91913B
	v_mul_f32_e32 v201, v59, v201                              // 0000000117E8: 0B93933B
	v_mul_f32_e32 v202, v59, v202                              // 0000000117EC: 0B95953B
	v_mul_f32_e32 v203, v59, v203                              // 0000000117F0: 0B97973B
	v_mul_f32_e32 v204, v59, v204                              // 0000000117F4: 0B99993B
	v_mul_f32_e32 v205, v59, v205                              // 0000000117F8: 0B9B9B3B
	v_mul_f32_e32 v206, v59, v206                              // 0000000117FC: 0B9D9D3B
	v_mul_f32_e32 v207, v59, v207                              // 000000011800: 0B9F9F3B
	v_add_f32_e32 v232, v232, v200                             // 000000011804: 03D191E8
	v_add_f32_e32 v233, v233, v201                             // 000000011808: 03D393E9
	v_add_f32_e32 v234, v234, v202                             // 00000001180C: 03D595EA
	v_add_f32_e32 v235, v235, v203                             // 000000011810: 03D797EB
	v_add_f32_e32 v236, v236, v204                             // 000000011814: 03D999EC
	v_add_f32_e32 v237, v237, v205                             // 000000011818: 03DB9BED
	v_add_f32_e32 v238, v238, v206                             // 00000001181C: 03DD9DEE
	v_add_f32_e32 v239, v239, v207                             // 000000011820: 03DF9FEF
	ds_write_b32 v11, v48 offset:16896                         // 000000011824: D81A4200 0000300B
	s_waitcnt lgkmcnt(0)                                       // 00000001182C: BF8CC07F
	s_barrier                                                  // 000000011830: BF8A0000
	ds_read_b32 v80, v10 offset:16896                          // 000000011834: D86C4200 5000000A
	ds_read_b32 v81, v10 offset:16960                          // 00000001183C: D86C4240 5100000A
	ds_read_b32 v82, v10 offset:17024                          // 000000011844: D86C4280 5200000A
	ds_read_b32 v83, v10 offset:17088                          // 00000001184C: D86C42C0 5300000A
	ds_read_b32 v84, v10 offset:17152                          // 000000011854: D86C4300 5400000A
	ds_read_b32 v85, v10 offset:17216                          // 00000001185C: D86C4340 5500000A
	ds_read_b32 v86, v10 offset:17280                          // 000000011864: D86C4380 5600000A
	ds_read_b32 v87, v10 offset:17344                          // 00000001186C: D86C43C0 5700000A
	ds_read_b32 v88, v10 offset:17408                          // 000000011874: D86C4400 5800000A
	ds_read_b32 v89, v10 offset:17472                          // 00000001187C: D86C4440 5900000A
	ds_read_b32 v90, v10 offset:17536                          // 000000011884: D86C4480 5A00000A
	ds_read_b32 v91, v10 offset:17600                          // 00000001188C: D86C44C0 5B00000A
	ds_read_b32 v92, v10 offset:17664                          // 000000011894: D86C4500 5C00000A
	ds_read_b32 v93, v10 offset:17728                          // 00000001189C: D86C4540 5D00000A
	ds_read_b32 v94, v10 offset:17792                          // 0000000118A4: D86C4580 5E00000A
	ds_read_b32 v95, v10 offset:17856                          // 0000000118AC: D86C45C0 5F00000A
	s_waitcnt lgkmcnt(0)                                       // 0000000118B4: BF8CC07F
	v_mov_b32_e32 v48, 0                                       // 0000000118B8: 7E600280
	v_add_f32_e32 v48, v80, v48                                // 0000000118BC: 02606150
	v_add_f32_e32 v48, v81, v48                                // 0000000118C0: 02606151
	v_add_f32_e32 v48, v82, v48                                // 0000000118C4: 02606152
	v_add_f32_e32 v48, v83, v48                                // 0000000118C8: 02606153
	v_add_f32_e32 v48, v84, v48                                // 0000000118CC: 02606154
	v_add_f32_e32 v48, v85, v48                                // 0000000118D0: 02606155
	v_add_f32_e32 v48, v86, v48                                // 0000000118D4: 02606156
	v_add_f32_e32 v48, v87, v48                                // 0000000118D8: 02606157
	v_add_f32_e32 v48, v88, v48                                // 0000000118DC: 02606158
	v_add_f32_e32 v48, v89, v48                                // 0000000118E0: 02606159
	v_add_f32_e32 v48, v90, v48                                // 0000000118E4: 0260615A
	v_add_f32_e32 v48, v91, v48                                // 0000000118E8: 0260615B
	v_add_f32_e32 v48, v92, v48                                // 0000000118EC: 0260615C
	v_add_f32_e32 v48, v93, v48                                // 0000000118F0: 0260615D
	v_add_f32_e32 v48, v94, v48                                // 0000000118F4: 0260615E
	v_add_f32_e32 v48, v95, v48                                // 0000000118F8: 0260615F
	s_nop 1                                                    // 0000000118FC: BF800001
	v_rcp_f32_e32 v48, v48                                     // 000000011900: 7E604530
	s_nop 1                                                    // 000000011904: BF800001
	v_mul_f32_e32 v232, v48, v232                              // 000000011908: 0BD1D130
	v_mul_f32_e32 v233, v48, v233                              // 00000001190C: 0BD3D330
	v_mul_f32_e32 v234, v48, v234                              // 000000011910: 0BD5D530
	v_mul_f32_e32 v235, v48, v235                              // 000000011914: 0BD7D730
	v_mul_f32_e32 v236, v48, v236                              // 000000011918: 0BD9D930
	v_mul_f32_e32 v237, v48, v237                              // 00000001191C: 0BDBDB30
	v_mul_f32_e32 v238, v48, v238                              // 000000011920: 0BDDDD30
	v_mul_f32_e32 v239, v48, v239                              // 000000011924: 0BDFDF30
	v_cmp_u_f32_e64 s[40:41], v232, v232                       // 000000011928: D0480028 0003D1E8
	v_add3_u32 v21, v232, v24, 1                               // 000000011930: D1FF0015 020631E8
	v_cndmask_b32_e64 v41, v21, v23, s[40:41]                  // 000000011938: D1000029 00A22F15
	v_cmp_u_f32_e64 s[40:41], v233, v233                       // 000000011940: D0480028 0003D3E9
	v_add3_u32 v21, v233, v24, 1                               // 000000011948: D1FF0015 020631E9
	v_cndmask_b32_e64 v42, v21, v23, s[40:41]                  // 000000011950: D100002A 00A22F15
	v_perm_b32 v232, v42, v41, s52                             // 000000011958: D1ED00E8 00D2532A
	v_cmp_u_f32_e64 s[40:41], v234, v234                       // 000000011960: D0480028 0003D5EA
	v_add3_u32 v21, v234, v24, 1                               // 000000011968: D1FF0015 020631EA
	v_cndmask_b32_e64 v41, v21, v23, s[40:41]                  // 000000011970: D1000029 00A22F15
	v_cmp_u_f32_e64 s[40:41], v235, v235                       // 000000011978: D0480028 0003D7EB
	v_add3_u32 v21, v235, v24, 1                               // 000000011980: D1FF0015 020631EB
	v_cndmask_b32_e64 v42, v21, v23, s[40:41]                  // 000000011988: D100002A 00A22F15
	v_perm_b32 v233, v42, v41, s52                             // 000000011990: D1ED00E9 00D2532A
	v_cmp_u_f32_e64 s[40:41], v236, v236                       // 000000011998: D0480028 0003D9EC
	v_add3_u32 v21, v236, v24, 1                               // 0000000119A0: D1FF0015 020631EC
	v_cndmask_b32_e64 v41, v21, v23, s[40:41]                  // 0000000119A8: D1000029 00A22F15
	v_cmp_u_f32_e64 s[40:41], v237, v237                       // 0000000119B0: D0480028 0003DBED
	v_add3_u32 v21, v237, v24, 1                               // 0000000119B8: D1FF0015 020631ED
	v_cndmask_b32_e64 v42, v21, v23, s[40:41]                  // 0000000119C0: D100002A 00A22F15
	v_perm_b32 v234, v42, v41, s52                             // 0000000119C8: D1ED00EA 00D2532A
	v_cmp_u_f32_e64 s[40:41], v238, v238                       // 0000000119D0: D0480028 0003DDEE
	v_add3_u32 v21, v238, v24, 1                               // 0000000119D8: D1FF0015 020631EE
	v_cndmask_b32_e64 v41, v21, v23, s[40:41]                  // 0000000119E0: D1000029 00A22F15
	v_cmp_u_f32_e64 s[40:41], v239, v239                       // 0000000119E8: D0480028 0003DFEF
	v_add3_u32 v21, v239, v24, 1                               // 0000000119F0: D1FF0015 020631EF
	v_cndmask_b32_e64 v42, v21, v23, s[40:41]                  // 0000000119F8: D100002A 00A22F15
	v_perm_b32 v235, v42, v41, s52                             // 000000011A00: D1ED00EB 00D2532A
	s_nop 1                                                    // 000000011A08: BF800001
	v_lshrrev_b32_e32 v41, 4, v0                               // 000000011A0C: 20520084
	v_mul_i32_i24_e32 v45, 34, v41                             // 000000011A10: 0C5A52A2
	v_and_b32_e32 v41, 15, v0                                  // 000000011A14: 2652008F
	v_mul_i32_i24_e32 v42, 2, v41                              // 000000011A18: 0C545282
	v_add_u32_e32 v45, v42, v45                                // 000000011A1C: 685A5B2A
	s_mul_i32 s60, s7, 0x88                                    // 000000011A20: 923CFF07 00000088
	v_add_u32_e32 v45, s60, v45                                // 000000011A28: 685A5A3C
	v_lshlrev_b32_e32 v45, 2, v45                              // 000000011A2C: 245A5A82
	ds_write_b64 v45, v[232:233] offset:41472                  // 000000011A30: D89AA200 0000E82D
	ds_write_b64 v45, v[234:235] offset:43648                  // 000000011A38: D89AAA80 0000EA2D
	v_lshrrev_b32_e32 v41, 1, v0                               // 000000011A40: 20520081
	v_mul_i32_i24_e32 v45, 34, v41                             // 000000011A44: 0C5A52A2
	v_and_b32_e32 v42, 1, v0                                   // 000000011A48: 26540081
	v_add_u32_e32 v45, v42, v45                                // 000000011A4C: 685A5B2A
	s_mul_i32 s60, s7, 2                                       // 000000011A50: 923C8207
	v_add_u32_e32 v45, s60, v45                                // 000000011A54: 685A5A3C
	v_lshlrev_b32_e32 v45, 2, v45                              // 000000011A58: 245A5A82
	s_waitcnt lgkmcnt(0)                                       // 000000011A5C: BF8CC07F
	s_barrier                                                  // 000000011A60: BF8A0000
	ds_read_b32 v232, v45 offset:41472                         // 000000011A64: D86CA200 E800002D
	ds_read_b32 v233, v45 offset:41504                         // 000000011A6C: D86CA220 E900002D
	s_mul_i32 s60, s7, 0x100                                   // 000000011A74: 923CFF07 00000100
	v_lshlrev_b32_e32 v41, 2, v0                               // 000000011A7C: 24520082
	v_add_u32_e64 v41, v41, s60                                // 000000011A80: D1340029 00007929
	s_waitcnt lgkmcnt(0)                                       // 000000011A88: BF8CC07F
	buffer_store_dword v232, v41, s[8:11], 0 offen             // 000000011A8C: E0701000 8002E829
	buffer_store_dword v233, v41, s[8:11], 0 offen offset:1024 // 000000011A94: E0701400 8002E929
	s_add_u32 s8, s75, s8                                      // 000000011A9C: 8008084B
	s_addc_u32 s9, 0, s9                                       // 000000011AA0: 82090980
	s_branch label_3E2A                                        // 000000011AA4: BF820000

0000000000011aa8 <label_3E2A>:
	s_waitcnt vmcnt(0) expcnt(0) lgkmcnt(0)                    // 000000011AA8: BF8C0000
	s_endpgm                                                   // 000000011AAC: BF810000
